;; amdgpu-corpus repo=ROCm/rocFFT kind=compiled arch=gfx906 opt=O3
	.text
	.amdgcn_target "amdgcn-amd-amdhsa--gfx906"
	.amdhsa_code_object_version 6
	.protected	bluestein_single_back_len2023_dim1_half_op_CI_CI ; -- Begin function bluestein_single_back_len2023_dim1_half_op_CI_CI
	.globl	bluestein_single_back_len2023_dim1_half_op_CI_CI
	.p2align	8
	.type	bluestein_single_back_len2023_dim1_half_op_CI_CI,@function
bluestein_single_back_len2023_dim1_half_op_CI_CI: ; @bluestein_single_back_len2023_dim1_half_op_CI_CI
; %bb.0:
	s_load_dwordx4 s[8:11], s[4:5], 0x28
	v_mul_u32_u24_e32 v1, 0x227, v0
	v_add_u32_sdwa v28, s6, v1 dst_sel:DWORD dst_unused:UNUSED_PAD src0_sel:DWORD src1_sel:WORD_1
	v_mov_b32_e32 v29, 0
	s_waitcnt lgkmcnt(0)
	v_cmp_gt_u64_e32 vcc, s[8:9], v[28:29]
	s_and_saveexec_b64 s[0:1], vcc
	s_cbranch_execz .LBB0_10
; %bb.1:
	s_load_dwordx4 s[0:3], s[4:5], 0x18
	s_load_dwordx4 s[12:15], s[4:5], 0x0
	s_mov_b32 s20, 0x3b7635c8
	s_waitcnt lgkmcnt(0)
	s_load_dwordx4 s[16:19], s[0:1], 0x0
	s_movk_i32 s0, 0x77
	v_mul_lo_u16_sdwa v1, v1, s0 dst_sel:DWORD dst_unused:UNUSED_PAD src0_sel:WORD_1 src1_sel:DWORD
	v_sub_u16_e32 v66, v0, v1
	v_lshlrev_b32_e32 v49, 2, v66
	s_waitcnt lgkmcnt(0)
	v_mad_u64_u32 v[0:1], s[0:1], s18, v28, 0
	v_mad_u64_u32 v[2:3], s[0:1], s16, v66, 0
	s_mul_hi_u32 s6, s16, 0x1dc
	s_mul_i32 s7, s16, 0x1dc
	v_mad_u64_u32 v[4:5], s[0:1], s19, v28, v[1:2]
	v_mov_b32_e32 v8, s13
	v_add_u32_e32 v7, 0x200, v49
	v_mad_u64_u32 v[5:6], s[0:1], s17, v66, v[3:4]
	v_mov_b32_e32 v1, v4
	v_lshlrev_b64 v[0:1], 2, v[0:1]
	v_mov_b32_e32 v6, s11
	v_mov_b32_e32 v3, v5
	v_add_co_u32_e32 v4, vcc, s10, v0
	v_addc_co_u32_e32 v5, vcc, v6, v1, vcc
	v_lshlrev_b64 v[0:1], 2, v[2:3]
	s_mul_i32 s0, s17, 0x1dc
	v_add_co_u32_e32 v0, vcc, v4, v0
	v_addc_co_u32_e32 v1, vcc, v5, v1, vcc
	s_add_i32 s6, s6, s0
	v_mov_b32_e32 v3, s6
	v_add_co_u32_e32 v2, vcc, s7, v0
	v_addc_co_u32_e32 v3, vcc, v1, v3, vcc
	global_load_dword v4, v[0:1], off
	global_load_dword v5, v[2:3], off
	global_load_dword v67, v49, s[12:13]
	global_load_dword v65, v49, s[12:13] offset:476
	v_mov_b32_e32 v1, s6
	v_add_co_u32_e32 v0, vcc, s7, v2
	v_addc_co_u32_e32 v1, vcc, v3, v1, vcc
	global_load_dword v2, v[0:1], off
	global_load_dword v64, v49, s[12:13] offset:952
	v_mov_b32_e32 v3, s6
	v_add_co_u32_e32 v0, vcc, s7, v0
	v_addc_co_u32_e32 v1, vcc, v1, v3, vcc
	global_load_dword v3, v[0:1], off
	;; [unrolled: 5-line block ×3, first 2 shown]
	global_load_dword v62, v49, s[12:13] offset:1904
	v_add_co_u32_e64 v35, s[0:1], s12, v49
	v_addc_co_u32_e64 v8, vcc, 0, v8, s[0:1]
	v_mov_b32_e32 v9, s6
	v_add_co_u32_e32 v0, vcc, s7, v0
	v_addc_co_u32_e32 v1, vcc, v1, v9, vcc
	s_load_dwordx4 s[8:11], s[2:3], 0x0
	global_load_dword v61, v49, s[12:13] offset:2380
	global_load_dword v60, v49, s[12:13] offset:2856
	;; [unrolled: 1-line block ×3, first 2 shown]
	global_load_dword v9, v[0:1], off
	v_mov_b32_e32 v10, s6
	v_add_co_u32_e32 v0, vcc, s7, v0
	v_addc_co_u32_e32 v1, vcc, v1, v10, vcc
	s_movk_i32 s2, 0x1000
	v_mov_b32_e32 v16, s6
	v_mov_b32_e32 v17, s6
	s_movk_i32 s3, 0x39e9
	s_movk_i32 s17, 0x2de8
	s_mov_b32 s16, 0xbacd
	s_mov_b32 s19, 0xbbddb1e1
	;; [unrolled: 1-line block ×3, first 2 shown]
	s_waitcnt vmcnt(13)
	v_lshrrev_b32_e32 v11, 16, v4
	s_waitcnt vmcnt(11)
	v_mul_f16_sdwa v12, v67, v4 dst_sel:DWORD dst_unused:UNUSED_PAD src0_sel:WORD_1 src1_sel:DWORD
	v_mul_f16_sdwa v13, v67, v11 dst_sel:DWORD dst_unused:UNUSED_PAD src0_sel:WORD_1 src1_sel:DWORD
	v_fma_f16 v11, v67, v11, -v12
	v_lshrrev_b32_e32 v12, 16, v5
	s_waitcnt vmcnt(10)
	v_mul_f16_sdwa v14, v65, v5 dst_sel:DWORD dst_unused:UNUSED_PAD src0_sel:WORD_1 src1_sel:DWORD
	v_fma_f16 v4, v67, v4, v13
	v_mul_f16_sdwa v13, v65, v12 dst_sel:DWORD dst_unused:UNUSED_PAD src0_sel:WORD_1 src1_sel:DWORD
	v_fma_f16 v12, v65, v12, -v14
	s_waitcnt vmcnt(9)
	v_lshrrev_b32_e32 v14, 16, v2
	s_waitcnt vmcnt(8)
	v_mul_f16_sdwa v15, v64, v2 dst_sel:DWORD dst_unused:UNUSED_PAD src0_sel:WORD_1 src1_sel:DWORD
	v_pack_b32_f16 v4, v4, v11
	v_fma_f16 v5, v65, v5, v13
	v_mul_f16_sdwa v11, v64, v14 dst_sel:DWORD dst_unused:UNUSED_PAD src0_sel:WORD_1 src1_sel:DWORD
	v_fma_f16 v13, v64, v14, -v15
	s_waitcnt vmcnt(7)
	v_lshrrev_b32_e32 v14, 16, v3
	s_waitcnt vmcnt(6)
	v_mul_f16_sdwa v15, v63, v3 dst_sel:DWORD dst_unused:UNUSED_PAD src0_sel:WORD_1 src1_sel:DWORD
	v_pack_b32_f16 v5, v5, v12
	v_fma_f16 v2, v64, v2, v11
	v_mul_f16_sdwa v11, v63, v14 dst_sel:DWORD dst_unused:UNUSED_PAD src0_sel:WORD_1 src1_sel:DWORD
	v_fma_f16 v12, v63, v14, -v15
	s_waitcnt vmcnt(5)
	v_lshrrev_b32_e32 v14, 16, v6
	ds_write2_b32 v49, v4, v5 offset1:119
	v_fma_f16 v3, v63, v3, v11
	s_waitcnt vmcnt(4)
	v_mul_f16_sdwa v4, v62, v14 dst_sel:DWORD dst_unused:UNUSED_PAD src0_sel:WORD_1 src1_sel:DWORD
	v_mul_f16_sdwa v15, v62, v6 dst_sel:DWORD dst_unused:UNUSED_PAD src0_sel:WORD_1 src1_sel:DWORD
	v_pack_b32_f16 v2, v2, v13
	v_pack_b32_f16 v3, v3, v12
	v_fma_f16 v4, v62, v6, v4
	global_load_dword v6, v[0:1], off
	ds_write2_b32 v7, v2, v3 offset0:110 offset1:229
	v_mov_b32_e32 v2, s6
	v_add_co_u32_e32 v0, vcc, s7, v0
	v_addc_co_u32_e32 v1, vcc, v1, v2, vcc
	global_load_dword v10, v[0:1], off
	v_add_co_u32_e32 v0, vcc, s7, v0
	v_addc_co_u32_e32 v1, vcc, v1, v2, vcc
	global_load_dword v11, v[0:1], off
	global_load_dword v58, v49, s[12:13] offset:3808
	v_add_co_u32_e32 v0, vcc, s7, v0
	v_addc_co_u32_e32 v1, vcc, v1, v2, vcc
	v_add_co_u32_e32 v2, vcc, s2, v35
	global_load_dword v12, v[0:1], off
	v_addc_co_u32_e32 v3, vcc, 0, v8, vcc
	global_load_dword v57, v[2:3], off offset:188
	v_mov_b32_e32 v8, s6
	v_add_co_u32_e32 v0, vcc, s7, v0
	v_addc_co_u32_e32 v1, vcc, v1, v8, vcc
	global_load_dword v8, v[0:1], off
	global_load_dword v56, v[2:3], off offset:664
	v_mov_b32_e32 v13, s6
	v_add_co_u32_e32 v0, vcc, s7, v0
	v_addc_co_u32_e32 v1, vcc, v1, v13, vcc
	global_load_dword v13, v[0:1], off
	global_load_dword v55, v[2:3], off offset:1140
	v_fma_f16 v5, v62, v14, -v15
	v_mov_b32_e32 v14, s6
	v_add_co_u32_e32 v0, vcc, s7, v0
	v_addc_co_u32_e32 v1, vcc, v1, v14, vcc
	global_load_dword v14, v[0:1], off
	global_load_dword v54, v[2:3], off offset:1616
	v_mov_b32_e32 v15, s6
	v_add_co_u32_e32 v0, vcc, s7, v0
	v_addc_co_u32_e32 v1, vcc, v1, v15, vcc
	global_load_dword v15, v[0:1], off
	global_load_dword v53, v[2:3], off offset:2092
	v_add_co_u32_e32 v0, vcc, s7, v0
	v_addc_co_u32_e32 v1, vcc, v1, v16, vcc
	global_load_dword v16, v[0:1], off
	global_load_dword v52, v[2:3], off offset:2568
	;; [unrolled: 4-line block ×3, first 2 shown]
	v_pack_b32_f16 v4, v4, v5
	v_mov_b32_e32 v5, s6
	v_add_co_u32_e32 v0, vcc, s7, v0
	v_addc_co_u32_e32 v1, vcc, v1, v5, vcc
	global_load_dword v5, v[0:1], off
	global_load_dword v50, v[2:3], off offset:3520
	s_waitcnt vmcnt(20)
	v_lshrrev_b32_e32 v0, 16, v9
	v_mul_f16_sdwa v1, v61, v0 dst_sel:DWORD dst_unused:UNUSED_PAD src0_sel:WORD_1 src1_sel:DWORD
	v_mul_f16_sdwa v2, v61, v9 dst_sel:DWORD dst_unused:UNUSED_PAD src0_sel:WORD_1 src1_sel:DWORD
	v_fma_f16 v1, v61, v9, v1
	v_fma_f16 v0, v61, v0, -v2
	v_pack_b32_f16 v0, v1, v0
	v_add_u32_e32 v2, 0x600, v49
	ds_write2_b32 v2, v4, v0 offset0:92 offset1:211
	s_movk_i32 s7, 0x3b76
	s_movk_i32 s2, 0x3722
	s_mov_b32 s6, 0xb461
	s_mov_b32 s12, 0xb8d2
	v_cmp_gt_u16_e32 vcc, 51, v66
	s_waitcnt vmcnt(19)
	v_lshrrev_b32_e32 v0, 16, v6
	v_mul_f16_sdwa v1, v60, v0 dst_sel:DWORD dst_unused:UNUSED_PAD src0_sel:WORD_1 src1_sel:DWORD
	v_mul_f16_sdwa v3, v60, v6 dst_sel:DWORD dst_unused:UNUSED_PAD src0_sel:WORD_1 src1_sel:DWORD
	v_fma_f16 v1, v60, v6, v1
	v_fma_f16 v0, v60, v0, -v3
	v_pack_b32_f16 v0, v1, v0
	s_waitcnt vmcnt(18)
	v_lshrrev_b32_e32 v1, 16, v10
	v_mul_f16_sdwa v3, v59, v1 dst_sel:DWORD dst_unused:UNUSED_PAD src0_sel:WORD_1 src1_sel:DWORD
	v_mul_f16_sdwa v4, v59, v10 dst_sel:DWORD dst_unused:UNUSED_PAD src0_sel:WORD_1 src1_sel:DWORD
	v_fma_f16 v3, v59, v10, v3
	v_fma_f16 v1, v59, v1, -v4
	v_pack_b32_f16 v1, v3, v1
	v_add_u32_e32 v3, 0xa00, v49
	ds_write2_b32 v3, v0, v1 offset0:74 offset1:193
	s_waitcnt vmcnt(17)
	v_lshrrev_b32_e32 v0, 16, v11
	s_waitcnt vmcnt(16)
	v_mul_f16_sdwa v1, v58, v0 dst_sel:DWORD dst_unused:UNUSED_PAD src0_sel:WORD_1 src1_sel:DWORD
	v_mul_f16_sdwa v4, v58, v11 dst_sel:DWORD dst_unused:UNUSED_PAD src0_sel:WORD_1 src1_sel:DWORD
	v_fma_f16 v1, v58, v11, v1
	v_fma_f16 v0, v58, v0, -v4
	v_pack_b32_f16 v0, v1, v0
	s_waitcnt vmcnt(15)
	v_lshrrev_b32_e32 v1, 16, v12
	s_waitcnt vmcnt(14)
	v_mul_f16_sdwa v4, v57, v1 dst_sel:DWORD dst_unused:UNUSED_PAD src0_sel:WORD_1 src1_sel:DWORD
	v_mul_f16_sdwa v6, v57, v12 dst_sel:DWORD dst_unused:UNUSED_PAD src0_sel:WORD_1 src1_sel:DWORD
	v_fma_f16 v4, v57, v12, v4
	v_fma_f16 v1, v57, v1, -v6
	v_pack_b32_f16 v1, v4, v1
	v_add_u32_e32 v6, 0xe00, v49
	ds_write2_b32 v6, v0, v1 offset0:56 offset1:175
	s_waitcnt vmcnt(13)
	v_lshrrev_b32_e32 v0, 16, v8
	s_waitcnt vmcnt(12)
	v_mul_f16_sdwa v1, v56, v0 dst_sel:DWORD dst_unused:UNUSED_PAD src0_sel:WORD_1 src1_sel:DWORD
	v_mul_f16_sdwa v4, v56, v8 dst_sel:DWORD dst_unused:UNUSED_PAD src0_sel:WORD_1 src1_sel:DWORD
	v_fma_f16 v1, v56, v8, v1
	v_fma_f16 v0, v56, v0, -v4
	v_pack_b32_f16 v0, v1, v0
	s_waitcnt vmcnt(11)
	v_lshrrev_b32_e32 v1, 16, v13
	s_waitcnt vmcnt(10)
	;; [unrolled: 18-line block ×4, first 2 shown]
	v_mul_f16_sdwa v9, v51, v1 dst_sel:DWORD dst_unused:UNUSED_PAD src0_sel:WORD_1 src1_sel:DWORD
	v_mul_f16_sdwa v10, v51, v17 dst_sel:DWORD dst_unused:UNUSED_PAD src0_sel:WORD_1 src1_sel:DWORD
	v_fma_f16 v9, v51, v17, v9
	v_fma_f16 v1, v51, v1, -v10
	v_pack_b32_f16 v1, v9, v1
	v_add_u32_e32 v9, 0x1800, v49
	ds_write2_b32 v9, v0, v1 offset0:130 offset1:249
	s_waitcnt vmcnt(1)
	v_lshrrev_b32_e32 v0, 16, v5
	s_waitcnt vmcnt(0)
	v_mul_f16_sdwa v1, v50, v0 dst_sel:DWORD dst_unused:UNUSED_PAD src0_sel:WORD_1 src1_sel:DWORD
	v_fma_f16 v1, v50, v5, v1
	v_mul_f16_sdwa v5, v50, v5 dst_sel:DWORD dst_unused:UNUSED_PAD src0_sel:WORD_1 src1_sel:DWORD
	v_fma_f16 v0, v50, v0, -v5
	v_pack_b32_f16 v0, v1, v0
	ds_write_b32 v49, v0 offset:7616
	s_waitcnt lgkmcnt(0)
	s_barrier
	ds_read2_b32 v[0:1], v49 offset1:119
	ds_read2_b32 v[16:17], v7 offset0:110 offset1:229
	ds_read2_b32 v[24:25], v2 offset0:92 offset1:211
	;; [unrolled: 1-line block ×3, first 2 shown]
	ds_read_b32 v23, v49 offset:7616
	ds_read2_b32 v[2:3], v6 offset0:56 offset1:175
	ds_read2_b32 v[29:30], v8 offset0:38 offset1:157
	;; [unrolled: 1-line block ×4, first 2 shown]
	s_waitcnt lgkmcnt(8)
	v_add_f16_e32 v38, v1, v0
	v_add_f16_sdwa v39, v1, v0 dst_sel:DWORD dst_unused:UNUSED_PAD src0_sel:WORD_1 src1_sel:WORD_1
	s_waitcnt lgkmcnt(7)
	v_add_f16_e32 v38, v38, v16
	s_waitcnt lgkmcnt(1)
	v_add_f16_e32 v19, v32, v16
	v_add_f16_sdwa v21, v32, v16 dst_sel:DWORD dst_unused:UNUSED_PAD src0_sel:WORD_1 src1_sel:WORD_1
	v_sub_f16_e32 v20, v16, v32
	v_sub_f16_sdwa v22, v16, v32 dst_sel:DWORD dst_unused:UNUSED_PAD src0_sel:WORD_1 src1_sel:WORD_1
	v_add_f16_sdwa v16, v39, v16 dst_sel:DWORD dst_unused:UNUSED_PAD src0_sel:DWORD src1_sel:WORD_1
	v_add_f16_e32 v38, v38, v17
	v_add_f16_sdwa v16, v16, v17 dst_sel:DWORD dst_unused:UNUSED_PAD src0_sel:DWORD src1_sel:WORD_1
	v_add_f16_e32 v38, v38, v24
	v_add_f16_sdwa v16, v16, v24 dst_sel:DWORD dst_unused:UNUSED_PAD src0_sel:DWORD src1_sel:WORD_1
	s_waitcnt lgkmcnt(0)
	v_add_f16_e32 v12, v34, v24
	v_add_f16_sdwa v14, v34, v24 dst_sel:DWORD dst_unused:UNUSED_PAD src0_sel:WORD_1 src1_sel:WORD_1
	v_sub_f16_e32 v13, v24, v34
	v_sub_f16_sdwa v15, v24, v34 dst_sel:DWORD dst_unused:UNUSED_PAD src0_sel:WORD_1 src1_sel:WORD_1
	v_add_f16_e32 v24, v38, v25
	v_add_f16_sdwa v16, v16, v25 dst_sel:DWORD dst_unused:UNUSED_PAD src0_sel:DWORD src1_sel:WORD_1
	v_add_f16_e32 v24, v24, v26
	v_add_f16_sdwa v16, v16, v26 dst_sel:DWORD dst_unused:UNUSED_PAD src0_sel:DWORD src1_sel:WORD_1
	v_add_f16_e32 v8, v30, v26
	v_add_f16_sdwa v10, v30, v26 dst_sel:DWORD dst_unused:UNUSED_PAD src0_sel:WORD_1 src1_sel:WORD_1
	v_sub_f16_e32 v9, v26, v30
	v_sub_f16_sdwa v11, v26, v30 dst_sel:DWORD dst_unused:UNUSED_PAD src0_sel:WORD_1 src1_sel:WORD_1
	v_add_f16_e32 v24, v24, v27
	v_add_f16_sdwa v26, v16, v27 dst_sel:DWORD dst_unused:UNUSED_PAD src0_sel:DWORD src1_sel:WORD_1
	v_add_f16_e32 v24, v24, v2
	v_add_f16_sdwa v26, v26, v2 dst_sel:DWORD dst_unused:UNUSED_PAD src0_sel:DWORD src1_sel:WORD_1
	;; [unrolled: 2-line block ×7, first 2 shown]
	v_sub_f16_e32 v37, v1, v23
	v_add_f16_e32 v5, v29, v27
	v_add_f16_sdwa v7, v29, v27 dst_sel:DWORD dst_unused:UNUSED_PAD src0_sel:WORD_1 src1_sel:WORD_1
	v_sub_f16_e32 v6, v27, v29
	v_sub_f16_sdwa v16, v27, v29 dst_sel:DWORD dst_unused:UNUSED_PAD src0_sel:WORD_1 src1_sel:WORD_1
	v_add_f16_e32 v27, v33, v25
	v_add_f16_sdwa v29, v33, v25 dst_sel:DWORD dst_unused:UNUSED_PAD src0_sel:WORD_1 src1_sel:WORD_1
	v_sub_f16_e32 v30, v25, v33
	v_sub_f16_sdwa v25, v25, v33 dst_sel:DWORD dst_unused:UNUSED_PAD src0_sel:WORD_1 src1_sel:WORD_1
	;; [unrolled: 4-line block ×3, first 2 shown]
	v_add_f16_e32 v17, v24, v31
	v_add_f16_sdwa v24, v26, v31 dst_sel:DWORD dst_unused:UNUSED_PAD src0_sel:DWORD src1_sel:WORD_1
	v_add_f16_e32 v18, v23, v1
	v_add_f16_sdwa v36, v23, v1 dst_sel:DWORD dst_unused:UNUSED_PAD src0_sel:WORD_1 src1_sel:WORD_1
	v_sub_f16_sdwa v1, v1, v23 dst_sel:DWORD dst_unused:UNUSED_PAD src0_sel:WORD_1 src1_sel:WORD_1
	v_add_f16_e32 v26, v17, v32
	v_add_f16_sdwa v24, v24, v32 dst_sel:DWORD dst_unused:UNUSED_PAD src0_sel:DWORD src1_sel:WORD_1
	v_mul_f16_e32 v32, 0xb5c8, v37
	v_mul_f16_e32 v43, 0xb964, v37
	;; [unrolled: 1-line block ×8, first 2 shown]
	v_fma_f16 v40, v36, s7, v32
	v_fma_f16 v32, v36, s7, -v32
	v_mul_f16_e32 v41, 0xb964, v1
	v_fma_f16 v44, v36, s3, v43
	v_fma_f16 v43, v36, s3, -v43
	v_mul_f16_e32 v45, 0xbb29, v1
	;; [unrolled: 3-line block ×5, first 2 shown]
	v_fma_f16 v79, v36, s12, v78
	v_fma_f16 v78, v36, s12, -v78
	v_fma_f16 v81, v36, s16, v80
	v_fma_f16 v80, v36, s16, -v80
	v_pack_b32_f16 v36, v36, v1
	v_mul_f16_e32 v1, 0xb836, v1
	v_fma_f16 v31, v18, s7, -v17
	v_fma_f16 v17, v18, s7, v17
	v_fma_f16 v42, v18, s3, -v41
	v_fma_f16 v41, v18, s3, v41
	;; [unrolled: 2-line block ×7, first 2 shown]
	v_pack_b32_f16 v18, v37, v18
	v_pk_mul_f16 v18, v18, s19
	v_pk_fma_f16 v37, v36, s18, v18 neg_lo:[1,0,0] neg_hi:[1,0,0]
	v_pk_fma_f16 v83, v36, s18, v18
	v_pk_fma_f16 v18, v36, s18, v18 neg_lo:[0,0,1] neg_hi:[0,0,1]
	v_add_f16_e32 v31, v31, v0
	v_add_f16_sdwa v36, v40, v0 dst_sel:DWORD dst_unused:UNUSED_PAD src0_sel:DWORD src1_sel:WORD_1
	v_add_f16_e32 v40, v17, v0
	v_add_f16_sdwa v32, v32, v0 dst_sel:DWORD dst_unused:UNUSED_PAD src0_sel:DWORD src1_sel:WORD_1
	;; [unrolled: 2-line block ×14, first 2 shown]
	v_pk_add_f16 v37, v37, v0 op_sel:[0,1] op_sel_hi:[1,0]
	v_pk_add_f16 v83, v83, v0 op_sel:[0,1] op_sel_hi:[1,0]
	;; [unrolled: 1-line block ×3, first 2 shown]
	v_add_f16_e32 v1, v3, v2
	v_add_f16_sdwa v18, v3, v2 dst_sel:DWORD dst_unused:UNUSED_PAD src0_sel:WORD_1 src1_sel:WORD_1
	v_sub_f16_e32 v17, v2, v3
	v_sub_f16_sdwa v2, v2, v3 dst_sel:DWORD dst_unused:UNUSED_PAD src0_sel:WORD_1 src1_sel:WORD_1
	v_add_f16_e32 v0, v26, v23
	v_add_f16_sdwa v3, v24, v23 dst_sel:WORD_1 dst_unused:UNUSED_PAD src0_sel:DWORD src1_sel:WORD_1
	v_or_b32_e32 v0, v3, v0
	v_mul_f16_e32 v3, 0xb964, v22
	v_fma_f16 v23, v19, s3, -v3
	v_mul_f16_e32 v24, 0xb964, v20
	v_add_f16_e32 v23, v23, v31
	v_fma_f16 v26, v21, s3, v24
	v_fma_f16 v24, v21, s3, -v24
	v_mul_f16_e32 v31, 0xbbf7, v22
	v_add_f16_e32 v26, v26, v36
	v_fma_f16 v3, v19, s3, v3
	v_add_f16_e32 v24, v24, v32
	v_fma_f16 v32, v19, s17, -v31
	v_mul_f16_e32 v36, 0xbbf7, v20
	v_fma_f16 v31, v19, s17, v31
	v_add_f16_e32 v3, v3, v40
	v_fma_f16 v40, v21, s17, v36
	v_add_f16_e32 v31, v31, v41
	v_fma_f16 v36, v21, s17, -v36
	v_mul_f16_e32 v41, 0xba62, v22
	v_add_f16_e32 v32, v32, v42
	v_add_f16_e32 v36, v36, v43
	v_fma_f16 v42, v19, s12, -v41
	v_mul_f16_e32 v43, 0xba62, v20
	v_fma_f16 v41, v19, s12, v41
	v_add_f16_e32 v40, v40, v44
	v_fma_f16 v44, v21, s12, v43
	v_add_f16_e32 v41, v41, v45
	v_fma_f16 v43, v21, s12, -v43
	s_mov_b32 s18, 0xbbdd
	v_mul_f16_e32 v45, 0xb1e1, v22
	v_add_f16_e32 v42, v42, v46
	v_add_f16_e32 v43, v43, v47
	v_fma_f16 v46, v19, s18, -v45
	v_mul_f16_e32 v47, 0xb1e1, v20
	v_fma_f16 v45, v19, s18, v45
	v_add_f16_e32 v44, v44, v48
	v_fma_f16 v48, v21, s18, v47
	v_add_f16_e32 v45, v45, v68
	v_fma_f16 v47, v21, s18, -v47
	v_mul_f16_e32 v68, 0x3836, v22
	v_add_f16_e32 v46, v46, v69
	v_add_f16_e32 v47, v47, v70
	v_fma_f16 v69, v19, s16, -v68
	v_mul_f16_e32 v70, 0x3836, v20
	v_fma_f16 v68, v19, s16, v68
	v_add_f16_e32 v48, v48, v71
	v_fma_f16 v71, v21, s16, v70
	v_add_f16_e32 v68, v68, v72
	v_fma_f16 v70, v21, s16, -v70
	;; [unrolled: 10-line block ×3, first 2 shown]
	v_mul_f16_e32 v76, 0x3b29, v22
	v_add_f16_e32 v73, v73, v77
	v_add_f16_e32 v74, v74, v78
	v_fma_f16 v77, v19, s2, -v76
	v_mul_f16_e32 v78, 0x3b29, v20
	v_fma_f16 v76, v19, s2, v76
	v_pack_b32_f16 v19, v20, v19
	v_add_f16_e32 v75, v75, v79
	v_fma_f16 v79, v21, s2, v78
	v_fma_f16 v78, v21, s2, -v78
	v_pack_b32_f16 v21, v21, v22
	s_mov_b32 s19, 0x35c83b76
	v_pk_mul_f16 v19, v19, s20
	v_pk_fma_f16 v20, v21, s19, v19 neg_lo:[1,0,0] neg_hi:[1,0,0]
	v_pk_fma_f16 v22, v21, s19, v19
	v_pk_fma_f16 v19, v21, s19, v19 neg_lo:[0,0,1] neg_hi:[0,0,1]
	v_mul_f16_e32 v21, 0xbb29, v39
	v_pk_add_f16 v20, v20, v37
	v_fma_f16 v37, v38, s2, -v21
	v_add_f16_e32 v23, v37, v23
	v_mul_f16_e32 v37, 0xbb29, v34
	v_fma_f16 v21, v38, s2, v21
	v_add_f16_e32 v3, v21, v3
	v_fma_f16 v21, v33, s2, -v37
	v_add_f16_e32 v21, v21, v24
	v_mul_f16_e32 v24, 0xba62, v39
	v_add_f16_e32 v78, v78, v80
	v_fma_f16 v80, v33, s2, v37
	v_fma_f16 v37, v38, s12, -v24
	v_add_f16_e32 v32, v37, v32
	v_mul_f16_e32 v37, 0xba62, v34
	v_fma_f16 v24, v38, s12, v24
	v_add_f16_e32 v24, v24, v31
	v_fma_f16 v31, v33, s12, -v37
	v_add_f16_e32 v31, v31, v36
	v_mul_f16_e32 v36, 0x31e1, v39
	v_add_f16_e32 v26, v80, v26
	v_fma_f16 v80, v33, s12, v37
	v_fma_f16 v37, v38, s18, -v36
	v_add_f16_e32 v37, v37, v42
	v_mul_f16_e32 v42, 0x31e1, v34
	v_fma_f16 v36, v38, s18, v36
	v_add_f16_e32 v40, v80, v40
	v_fma_f16 v80, v33, s18, v42
	v_add_f16_e32 v36, v36, v41
	v_fma_f16 v41, v33, s18, -v42
	v_mul_f16_e32 v42, 0x3bb2, v39
	v_add_f16_e32 v41, v41, v43
	v_fma_f16 v43, v38, s6, -v42
	v_add_f16_e32 v43, v43, v46
	v_mul_f16_e32 v46, 0x3bb2, v34
	v_fma_f16 v42, v38, s6, v42
	v_add_f16_e32 v44, v80, v44
	v_fma_f16 v80, v33, s6, v46
	v_add_f16_e32 v42, v42, v45
	v_fma_f16 v45, v33, s6, -v46
	v_mul_f16_e32 v46, 0x3964, v39
	v_add_f16_e32 v45, v45, v47
	;; [unrolled: 10-line block ×4, first 2 shown]
	v_add_f16_e32 v72, v72, v74
	v_fma_f16 v74, v38, s17, -v73
	v_add_f16_e32 v76, v76, v84
	v_add_f16_e32 v74, v74, v77
	v_mul_f16_e32 v77, 0xbbf7, v34
	v_fma_f16 v73, v38, s17, v73
	v_pack_b32_f16 v34, v34, v38
	s_mov_b32 s20, 0xbacdb836
	v_add_f16_e32 v75, v80, v75
	v_fma_f16 v80, v33, s17, v77
	v_add_f16_e32 v73, v73, v76
	v_fma_f16 v76, v33, s17, -v77
	v_pack_b32_f16 v33, v33, v39
	s_mov_b32 s19, 0xb836bacd
	v_pk_mul_f16 v34, v34, s20
	v_pk_fma_f16 v38, v33, s19, v34 neg_lo:[1,0,0] neg_hi:[1,0,0]
	v_pk_add_f16 v19, v19, v85
	v_pk_add_f16 v20, v38, v20
	v_pk_fma_f16 v38, v33, s19, v34
	v_pk_fma_f16 v33, v33, s19, v34 neg_lo:[0,0,1] neg_hi:[0,0,1]
	v_pk_add_f16 v19, v33, v19
	v_mul_f16_e32 v33, 0xbbf7, v15
	v_fma_f16 v34, v12, s17, -v33
	v_add_f16_e32 v23, v34, v23
	v_mul_f16_e32 v34, 0xbbf7, v13
	v_fma_f16 v33, v12, s17, v33
	v_add_f16_e32 v3, v33, v3
	v_fma_f16 v33, v14, s17, -v34
	v_pk_add_f16 v22, v22, v83
	v_add_f16_e32 v21, v33, v21
	v_mul_f16_e32 v33, 0xb1e1, v15
	v_pk_add_f16 v22, v38, v22
	v_fma_f16 v38, v14, s17, v34
	v_fma_f16 v34, v12, s18, -v33
	v_add_f16_e32 v32, v34, v32
	v_mul_f16_e32 v34, 0xb1e1, v13
	v_fma_f16 v33, v12, s18, v33
	v_add_f16_e32 v24, v33, v24
	v_fma_f16 v33, v14, s18, -v34
	v_add_f16_e32 v31, v33, v31
	v_mul_f16_e32 v33, 0x3bb2, v15
	v_add_f16_e32 v26, v38, v26
	v_fma_f16 v38, v14, s18, v34
	v_fma_f16 v34, v12, s6, -v33
	v_add_f16_e32 v34, v34, v37
	v_mul_f16_e32 v37, 0x3bb2, v13
	v_fma_f16 v33, v12, s6, v33
	v_fma_f16 v39, v14, s6, v37
	v_add_f16_e32 v33, v33, v36
	v_fma_f16 v36, v14, s6, -v37
	v_mul_f16_e32 v37, 0x35c8, v15
	v_add_f16_e32 v38, v38, v40
	v_add_f16_e32 v36, v36, v41
	v_fma_f16 v40, v12, s7, -v37
	v_mul_f16_e32 v41, 0x35c8, v13
	v_fma_f16 v37, v12, s7, v37
	v_add_f16_e32 v40, v40, v43
	v_fma_f16 v43, v14, s7, v41
	v_add_f16_e32 v37, v37, v42
	v_fma_f16 v41, v14, s7, -v41
	v_mul_f16_e32 v42, 0xbb29, v15
	v_add_f16_e32 v39, v39, v44
	v_add_f16_e32 v41, v41, v45
	v_fma_f16 v44, v12, s2, -v42
	v_mul_f16_e32 v45, 0xbb29, v13
	v_fma_f16 v42, v12, s2, v42
	v_add_f16_e32 v44, v44, v47
	;; [unrolled: 10-line block ×3, first 2 shown]
	v_fma_f16 v70, v14, s16, v68
	v_add_f16_e32 v46, v46, v69
	v_fma_f16 v68, v14, s16, -v68
	v_mul_f16_e32 v69, 0x3a62, v15
	v_add_f16_e32 v47, v47, v71
	v_add_f16_e32 v68, v68, v72
	v_fma_f16 v71, v12, s12, -v69
	v_mul_f16_e32 v72, 0x3a62, v13
	v_fma_f16 v69, v12, s12, v69
	v_pack_b32_f16 v12, v13, v12
	s_mov_b32 s20, 0x39e93964
	v_add_f16_e32 v71, v71, v74
	v_fma_f16 v74, v14, s12, v72
	v_fma_f16 v72, v14, s12, -v72
	v_pack_b32_f16 v14, v14, v15
	s_mov_b32 s19, 0x396439e9
	v_pk_mul_f16 v12, v12, s20
	v_pk_fma_f16 v13, v14, s19, v12 neg_lo:[1,0,0] neg_hi:[1,0,0]
	v_pk_fma_f16 v15, v14, s19, v12
	v_pk_fma_f16 v12, v14, s19, v12 neg_lo:[0,0,1] neg_hi:[0,0,1]
	v_mul_f16_e32 v14, 0xbbb2, v25
	v_pk_add_f16 v13, v13, v20
	v_pk_add_f16 v12, v12, v19
	v_fma_f16 v19, v27, s6, -v14
	v_mul_f16_e32 v20, 0xbbb2, v30
	v_fma_f16 v14, v27, s6, v14
	v_pk_add_f16 v15, v15, v22
	v_fma_f16 v22, v29, s6, v20
	v_add_f16_e32 v3, v14, v3
	v_fma_f16 v14, v29, s6, -v20
	v_mul_f16_e32 v20, 0x3836, v25
	v_add_f16_e32 v19, v19, v23
	v_add_f16_e32 v14, v14, v21
	v_fma_f16 v21, v27, s16, -v20
	v_mul_f16_e32 v23, 0x3836, v30
	v_fma_f16 v20, v27, s16, v20
	v_add_f16_e32 v22, v22, v26
	v_fma_f16 v26, v29, s16, v23
	v_add_f16_e32 v20, v20, v24
	v_fma_f16 v23, v29, s16, -v23
	v_mul_f16_e32 v24, 0x3964, v25
	v_add_f16_e32 v21, v21, v32
	v_add_f16_e32 v23, v23, v31
	v_fma_f16 v31, v27, s3, -v24
	v_mul_f16_e32 v32, 0x3964, v30
	v_fma_f16 v24, v27, s3, v24
	v_add_f16_e32 v31, v31, v34
	;; [unrolled: 10-line block ×3, first 2 shown]
	v_fma_f16 v39, v29, s2, v38
	v_add_f16_e32 v33, v33, v37
	v_fma_f16 v37, v29, s2, -v38
	v_mul_f16_e32 v38, 0xb1e1, v25
	v_add_f16_e32 v36, v36, v40
	v_fma_f16 v40, v27, s18, -v38
	v_fma_f16 v38, v27, s18, v38
	v_add_f16_e32 v37, v37, v41
	v_mul_f16_e32 v41, 0xb1e1, v30
	v_add_f16_e32 v38, v38, v42
	v_mul_f16_e32 v42, 0x3bf7, v25
	v_add_f16_e32 v39, v39, v43
	v_add_f16_e32 v40, v40, v44
	v_fma_f16 v43, v29, s18, v41
	v_fma_f16 v41, v29, s18, -v41
	v_fma_f16 v44, v27, s17, -v42
	v_fma_f16 v42, v27, s17, v42
	v_add_f16_e32 v41, v41, v45
	v_mul_f16_e32 v45, 0x3bf7, v30
	v_add_f16_e32 v42, v42, v46
	v_mul_f16_e32 v46, 0xb5c8, v25
	v_add_f16_e32 v43, v43, v47
	v_add_f16_e32 v44, v44, v48
	v_fma_f16 v47, v29, s17, v45
	v_fma_f16 v45, v29, s17, -v45
	v_fma_f16 v48, v27, s7, -v46
	v_fma_f16 v46, v27, s7, v46
	v_pack_b32_f16 v27, v30, v27
	s_mov_b32 s20, 0xb8d2ba62
	v_add_f16_e32 v70, v70, v75
	v_add_f16_e32 v45, v45, v68
	v_mul_f16_e32 v68, 0xb5c8, v30
	v_pack_b32_f16 v25, v29, v25
	s_mov_b32 s19, 0xba62b8d2
	v_pk_mul_f16 v27, v27, s20
	v_add_f16_e32 v47, v47, v70
	v_fma_f16 v70, v29, s7, v68
	v_fma_f16 v68, v29, s7, -v68
	v_pk_fma_f16 v29, v25, s19, v27 neg_lo:[1,0,0] neg_hi:[1,0,0]
	v_pk_add_f16 v13, v29, v13
	v_pk_fma_f16 v29, v25, s19, v27
	v_pk_fma_f16 v25, v25, s19, v27 neg_lo:[0,0,1] neg_hi:[0,0,1]
	v_pk_add_f16 v12, v25, v12
	v_mul_f16_e32 v25, 0xba62, v11
	v_fma_f16 v27, v8, s12, -v25
	v_add_f16_e32 v19, v27, v19
	v_mul_f16_e32 v27, 0xba62, v9
	v_fma_f16 v25, v8, s12, v25
	v_add_f16_e32 v3, v25, v3
	v_fma_f16 v25, v10, s12, -v27
	v_add_f16_e32 v14, v25, v14
	v_mul_f16_e32 v25, 0x3bb2, v11
	v_pk_add_f16 v15, v29, v15
	v_fma_f16 v29, v10, s12, v27
	v_fma_f16 v27, v8, s6, -v25
	v_add_f16_e32 v21, v27, v21
	v_mul_f16_e32 v27, 0x3bb2, v9
	v_fma_f16 v25, v8, s6, v25
	v_add_f16_e32 v20, v25, v20
	v_fma_f16 v25, v10, s6, -v27
	v_add_f16_e32 v22, v29, v22
	v_fma_f16 v29, v10, s6, v27
	v_add_f16_e32 v23, v25, v23
	v_mul_f16_e32 v25, 0xb5c8, v11
	v_add_f16_e32 v26, v29, v26
	v_fma_f16 v27, v8, s7, -v25
	v_mul_f16_e32 v29, 0xb5c8, v9
	v_fma_f16 v25, v8, s7, v25
	v_fma_f16 v30, v10, s7, v29
	v_add_f16_e32 v24, v25, v24
	v_fma_f16 v25, v10, s7, -v29
	v_mul_f16_e32 v29, 0xb836, v11
	v_add_f16_e32 v27, v27, v31
	v_add_f16_e32 v25, v25, v32
	v_fma_f16 v31, v8, s16, -v29
	v_mul_f16_e32 v32, 0xb836, v9
	v_fma_f16 v29, v8, s16, v29
	v_add_f16_e32 v30, v30, v34
	v_fma_f16 v34, v10, s16, v32
	v_add_f16_e32 v29, v29, v33
	v_fma_f16 v32, v10, s16, -v32
	v_mul_f16_e32 v33, 0x3bf7, v11
	v_add_f16_e32 v31, v31, v36
	v_add_f16_e32 v32, v32, v37
	v_fma_f16 v36, v8, s17, -v33
	v_mul_f16_e32 v37, 0x3bf7, v9
	v_fma_f16 v33, v8, s17, v33
	v_add_f16_e32 v34, v34, v39
	v_fma_f16 v39, v10, s17, v37
	v_add_f16_e32 v33, v33, v38
	v_fma_f16 v37, v10, s17, -v37
	v_mul_f16_e32 v38, 0xb964, v11
	v_add_f16_e32 v36, v36, v40
	v_add_f16_e32 v37, v37, v41
	v_fma_f16 v40, v8, s3, -v38
	v_mul_f16_e32 v41, 0xb964, v9
	v_fma_f16 v38, v8, s3, v38
	v_add_f16_e32 v39, v39, v43
	v_fma_f16 v43, v10, s3, v41
	v_add_f16_e32 v38, v38, v42
	v_fma_f16 v41, v10, s3, -v41
	v_mul_f16_e32 v42, 0xb1e1, v11
	v_add_f16_e32 v40, v40, v44
	v_add_f16_e32 v41, v41, v45
	v_fma_f16 v44, v8, s18, -v42
	v_mul_f16_e32 v45, 0xb1e1, v9
	v_fma_f16 v42, v8, s18, v42
	v_pack_b32_f16 v8, v9, v8
	s_mov_b32 s20, 0x37223b29
	v_add_f16_e32 v43, v43, v47
	v_fma_f16 v47, v10, s18, v45
	v_fma_f16 v45, v10, s18, -v45
	v_pack_b32_f16 v10, v10, v11
	s_mov_b32 s19, 0x3b293722
	v_pk_mul_f16 v8, v8, s20
	v_pk_fma_f16 v9, v10, s19, v8 neg_lo:[1,0,0] neg_hi:[1,0,0]
	v_pk_fma_f16 v11, v10, s19, v8
	v_pk_fma_f16 v8, v10, s19, v8 neg_lo:[0,0,1] neg_hi:[0,0,1]
	v_mul_f16_e32 v10, 0xb836, v16
	v_pk_add_f16 v9, v9, v13
	v_pk_add_f16 v8, v8, v12
	v_fma_f16 v12, v5, s16, -v10
	v_mul_f16_e32 v13, 0xb836, v6
	v_fma_f16 v10, v5, s16, v10
	v_pk_add_f16 v11, v11, v15
	v_fma_f16 v15, v7, s16, v13
	v_add_f16_e32 v3, v10, v3
	v_fma_f16 v10, v7, s16, -v13
	v_mul_f16_e32 v13, 0x3b29, v16
	v_add_f16_e32 v12, v12, v19
	v_add_f16_e32 v10, v10, v14
	v_fma_f16 v14, v5, s2, -v13
	v_mul_f16_e32 v19, 0x3b29, v6
	v_fma_f16 v13, v5, s2, v13
	v_add_f16_e32 v14, v14, v21
	v_fma_f16 v21, v7, s2, v19
	v_add_f16_e32 v13, v13, v20
	v_fma_f16 v19, v7, s2, -v19
	v_mul_f16_e32 v20, 0xbbf7, v16
	v_add_f16_e32 v15, v15, v22
	v_add_f16_e32 v19, v19, v23
	v_fma_f16 v22, v5, s17, -v20
	v_mul_f16_e32 v23, 0xbbf7, v6
	v_fma_f16 v20, v5, s17, v20
	v_add_f16_e32 v21, v21, v26
	v_add_f16_e32 v22, v22, v27
	v_fma_f16 v26, v7, s17, v23
	v_add_f16_e32 v20, v20, v24
	v_fma_f16 v23, v7, s17, -v23
	v_mul_f16_e32 v24, 0x3a62, v16
	v_mul_f16_e32 v27, 0x3a62, v6
	v_add_f16_e32 v26, v26, v30
	v_add_f16_e32 v23, v23, v25
	v_fma_f16 v25, v5, s12, -v24
	v_fma_f16 v30, v7, s12, v27
	v_fma_f16 v24, v5, s12, v24
	v_fma_f16 v27, v7, s12, -v27
	v_add_f16_e32 v24, v24, v29
	v_add_f16_e32 v29, v27, v32
	v_mul_f16_e32 v27, 0xb5c8, v16
	v_add_f16_e32 v25, v25, v31
	v_fma_f16 v31, v5, s7, -v27
	v_mul_f16_e32 v32, 0xb5c8, v6
	v_fma_f16 v27, v5, s7, v27
	v_add_f16_e32 v33, v27, v33
	v_fma_f16 v27, v7, s7, -v32
	v_add_f16_e32 v30, v30, v34
	v_fma_f16 v34, v7, s7, v32
	v_add_f16_e32 v32, v27, v37
	v_mul_f16_e32 v27, 0xb1e1, v16
	v_add_f16_e32 v69, v69, v73
	v_add_f16_e32 v31, v31, v36
	v_fma_f16 v36, v5, s18, -v27
	v_add_f16_e32 v46, v46, v69
	v_add_f16_e32 v37, v36, v40
	v_mul_f16_e32 v36, 0xb1e1, v6
	v_fma_f16 v27, v5, s18, v27
	v_add_f16_e32 v42, v42, v46
	v_add_f16_e32 v46, v27, v38
	v_fma_f16 v27, v7, s18, -v36
	v_add_f16_e32 v48, v48, v71
	v_add_f16_e32 v41, v27, v41
	v_mul_f16_e32 v27, 0x3964, v16
	v_add_f16_e32 v44, v44, v48
	v_add_f16_e32 v34, v34, v39
	v_fma_f16 v39, v7, s18, v36
	v_fma_f16 v36, v5, s3, -v27
	v_add_f16_e32 v44, v36, v44
	v_mul_f16_e32 v36, 0x3964, v6
	v_fma_f16 v27, v5, s3, v27
	v_pack_b32_f16 v5, v6, v5
	s_mov_b32 s19, 0xb461bbb2
	v_fma_f16 v38, v7, s3, v36
	v_add_f16_e32 v42, v27, v42
	v_fma_f16 v27, v7, s3, -v36
	v_pack_b32_f16 v7, v7, v16
	s_mov_b32 s17, 0xbbb2b461
	v_pk_mul_f16 v5, v5, s19
	v_pk_fma_f16 v6, v7, s17, v5 neg_lo:[1,0,0] neg_hi:[1,0,0]
	v_add_f16_e32 v79, v79, v81
	v_pk_add_f16 v6, v6, v9
	v_pk_fma_f16 v9, v7, s17, v5
	v_pk_fma_f16 v5, v7, s17, v5 neg_lo:[0,0,1] neg_hi:[0,0,1]
	v_mul_f16_e32 v7, 0xb1e1, v2
	v_add_f16_e32 v79, v80, v79
	v_pk_add_f16 v9, v9, v11
	v_pk_add_f16 v5, v5, v8
	v_fma_f16 v8, v1, s18, -v7
	v_mul_f16_e32 v11, 0xb1e1, v17
	v_fma_f16 v7, v1, s18, v7
	v_add_f16_e32 v74, v74, v79
	v_add_f16_e32 v36, v7, v3
	v_fma_f16 v3, v18, s18, -v11
	v_add_f16_e32 v70, v70, v74
	v_add_f16_e32 v43, v39, v43
	;; [unrolled: 1-line block ×3, first 2 shown]
	v_mul_f16_e32 v3, 0x35c8, v2
	v_add_f16_e32 v47, v47, v70
	v_fma_f16 v7, v1, s7, -v3
	v_mul_f16_e32 v10, 0x35c8, v17
	v_fma_f16 v3, v1, s7, v3
	v_add_f16_e32 v76, v76, v78
	v_add_f16_e32 v47, v38, v47
	;; [unrolled: 1-line block ×3, first 2 shown]
	v_fma_f16 v3, v18, s7, -v10
	v_add_f16_e32 v72, v72, v76
	v_add_f16_e32 v40, v3, v19
	v_mul_f16_e32 v3, 0xb836, v2
	v_mul_f16_e32 v13, 0xb836, v17
	v_add_f16_e32 v68, v68, v72
	v_add_f16_e32 v8, v8, v12
	v_fma_f16 v12, v18, s18, v11
	v_add_f16_e32 v7, v7, v14
	v_fma_f16 v11, v18, s7, v10
	v_fma_f16 v10, v1, s16, -v3
	v_fma_f16 v14, v18, s16, v13
	v_fma_f16 v3, v1, s16, v3
	v_add_f16_e32 v45, v45, v68
	v_add_f16_e32 v14, v14, v26
	;; [unrolled: 1-line block ×3, first 2 shown]
	v_fma_f16 v3, v18, s16, -v13
	v_add_f16_e32 v45, v27, v45
	v_add_f16_e32 v12, v12, v15
	;; [unrolled: 1-line block ×3, first 2 shown]
	v_mul_f16_e32 v3, 0x3964, v2
	v_mul_f16_e32 v15, 0x3964, v17
	v_fma_f16 v13, v1, s3, -v3
	v_fma_f16 v16, v18, s3, v15
	v_mul_f16_e32 v19, 0xba62, v2
	v_add_f16_e32 v13, v13, v25
	v_add_f16_e32 v16, v16, v30
	v_fma_f16 v3, v1, s3, v3
	v_fma_f16 v15, v18, s3, -v15
	v_fma_f16 v20, v1, s12, -v19
	v_mul_f16_e32 v23, 0x3b29, v2
	v_mul_f16_e32 v25, 0x3b29, v17
	;; [unrolled: 1-line block ×3, first 2 shown]
	v_add_f16_e32 v11, v11, v21
	v_add_f16_e32 v3, v3, v24
	;; [unrolled: 1-line block ×4, first 2 shown]
	v_mul_f16_e32 v21, 0xba62, v17
	v_fma_f16 v19, v1, s12, v19
	v_fma_f16 v24, v1, s2, -v23
	v_fma_f16 v29, v18, s2, v25
	v_fma_f16 v23, v1, s2, v23
	v_fma_f16 v25, v18, s2, -v25
	v_fma_f16 v31, v1, s6, -v30
	v_fma_f16 v30, v1, s6, v30
	s_load_dwordx2 s[2:3], s[4:5], 0x38
	v_pack_b32_f16 v1, v17, v1
	s_mov_b32 s5, 0x2de83bf7
	v_add_f16_e32 v10, v10, v22
	v_fma_f16 v22, v18, s12, v21
	v_fma_f16 v21, v18, s12, -v21
	v_pack_b32_f16 v2, v18, v2
	s_mov_b32 s4, 0x3bf72de8
	v_pk_mul_f16 v1, v1, s5
	v_add_f16_e32 v21, v21, v32
	v_mul_f16_e32 v32, 0xbbb2, v17
	v_pk_fma_f16 v17, v2, s4, v1 neg_lo:[1,0,0] neg_hi:[1,0,0]
	v_add_f16_e32 v22, v22, v34
	v_mul_lo_u16_e32 v34, 17, v66
	v_pk_add_f16 v6, v17, v6
	v_pk_fma_f16 v17, v2, s4, v1
	v_pk_fma_f16 v1, v2, s4, v1 neg_lo:[0,0,1] neg_hi:[0,0,1]
	v_add_f16_e32 v24, v24, v37
	v_lshlrev_b32_e32 v37, 2, v34
	v_pk_add_f16 v1, v1, v5
	v_pack_b32_f16 v2, v7, v11
	v_pack_b32_f16 v5, v8, v12
	v_add_f16_e32 v19, v19, v33
	v_add_f16_e32 v29, v29, v43
	v_fma_f16 v33, v18, s6, v32
	s_waitcnt lgkmcnt(0)
	s_barrier
	ds_write2_b32 v37, v5, v2 offset0:1 offset1:2
	v_pack_b32_f16 v2, v13, v16
	v_pack_b32_f16 v5, v10, v14
	v_add_f16_e32 v31, v31, v44
	v_add_f16_e32 v33, v33, v47
	ds_write2_b32 v37, v5, v2 offset0:3 offset1:4
	v_pack_b32_f16 v2, v24, v29
	v_pack_b32_f16 v5, v20, v22
	v_fma_f16 v32, v18, s6, -v32
	v_pk_add_f16 v9, v17, v9
	ds_write2_b32 v37, v5, v2 offset0:5 offset1:6
	v_pack_b32_f16 v2, v31, v33
	v_add_f16_e32 v23, v23, v46
	v_add_f16_e32 v25, v25, v41
	v_add_f16_e32 v30, v30, v42
	v_add_f16_e32 v32, v32, v45
	ds_write2_b32 v37, v0, v2 offset1:7
	v_alignbit_b32 v0, v1, v9, 16
	v_alignbit_b32 v1, v9, v6, 16
	ds_write2_b32 v37, v1, v0 offset0:8 offset1:9
	v_pack_b32_f16 v0, v23, v25
	v_pack_b32_f16 v1, v30, v32
	ds_write2_b32 v37, v1, v0 offset0:10 offset1:11
	v_pack_b32_f16 v0, v3, v15
	v_pack_b32_f16 v1, v19, v21
	;; [unrolled: 3-line block ×3, first 2 shown]
	ds_write2_b32 v37, v1, v0 offset0:14 offset1:15
	v_pack_b32_f16 v0, v36, v39
	ds_write_b32 v37, v0 offset:64
	v_add_u32_e32 v0, 0x400, v49
	s_waitcnt lgkmcnt(0)
	s_barrier
	ds_read2_b32 v[14:15], v0 offset0:33 offset1:152
	v_add_u32_e32 v0, 0x800, v49
	ds_read2_b32 v[16:17], v0 offset0:66 offset1:185
	v_add_u32_e32 v0, 0xc00, v49
	;; [unrolled: 2-line block ×3, first 2 shown]
	ds_read2_b32 v[12:13], v49 offset1:119
	ds_read2_b32 v[20:21], v0 offset0:132 offset1:251
	ds_read2_b32 v[22:23], v4 offset0:37 offset1:156
	v_add_u32_e32 v0, 0x1a00, v49
	ds_read2_b32 v[24:25], v0 offset0:70 offset1:189
                                        ; implicit-def: $vgpr41
                                        ; implicit-def: $vgpr47
                                        ; implicit-def: $vgpr42
                                        ; implicit-def: $vgpr45
                                        ; implicit-def: $vgpr43
                                        ; implicit-def: $vgpr46
                                        ; implicit-def: $vgpr44
                                        ; implicit-def: $vgpr48
	s_and_saveexec_b64 s[4:5], vcc
	s_cbranch_execz .LBB0_3
; %bb.2:
	ds_read_b32 v26, v49 offset:952
	ds_read_b32 v38, v49 offset:2108
	;; [unrolled: 1-line block ×7, first 2 shown]
	s_waitcnt lgkmcnt(6)
	v_lshrrev_b32_e32 v27, 16, v26
	s_waitcnt lgkmcnt(5)
	v_lshrrev_b32_e32 v40, 16, v38
	;; [unrolled: 2-line block ×7, first 2 shown]
.LBB0_3:
	s_or_b64 exec, exec, s[4:5]
	s_movk_i32 s4, 0xf1
	v_mul_lo_u16_sdwa v0, v66, s4 dst_sel:DWORD dst_unused:UNUSED_PAD src0_sel:BYTE_0 src1_sel:DWORD
	v_lshrrev_b16_e32 v78, 12, v0
	v_mul_lo_u16_e32 v0, 17, v78
	v_sub_u16_e32 v0, v66, v0
	v_and_b32_e32 v79, 0xff, v0
	v_mul_u32_u24_e32 v0, 6, v79
	v_lshlrev_b32_e32 v4, 2, v0
	v_add_u16_e32 v0, 0xee, v66
	v_mul_u32_u24_e32 v1, 0xf0f1, v0
	v_lshrrev_b32_e32 v68, 20, v1
	v_mul_lo_u16_e32 v1, 17, v68
	v_sub_u16_e32 v69, v0, v1
	v_mul_lo_u16_e32 v0, 6, v69
	v_lshlrev_b32_e32 v70, 2, v0
	global_load_dwordx4 v[0:3], v70, s[14:15]
	global_load_dwordx4 v[8:11], v4, s[14:15]
	global_load_dwordx2 v[33:34], v4, s[14:15] offset:16
	v_add_u16_e32 v4, 0x77, v66
	v_mul_lo_u16_sdwa v5, v4, s4 dst_sel:DWORD dst_unused:UNUSED_PAD src0_sel:BYTE_0 src1_sel:DWORD
	v_lshrrev_b16_e32 v80, 12, v5
	v_mul_lo_u16_e32 v5, 17, v80
	v_sub_u16_e32 v4, v4, v5
	v_and_b32_e32 v81, 0xff, v4
	v_mul_u32_u24_e32 v4, 6, v81
	v_lshlrev_b32_e32 v71, 2, v4
	global_load_dwordx4 v[4:7], v71, s[14:15]
	global_load_dwordx2 v[31:32], v71, s[14:15] offset:16
	global_load_dwordx2 v[29:30], v70, s[14:15] offset:16
	s_waitcnt lgkmcnt(6)
	v_lshrrev_b32_e32 v70, 16, v14
	s_waitcnt lgkmcnt(5)
	v_lshrrev_b32_e32 v71, 16, v16
	;; [unrolled: 2-line block ×4, first 2 shown]
	v_lshrrev_b32_e32 v72, 16, v18
	v_lshrrev_b32_e32 v73, 16, v20
	;; [unrolled: 1-line block ×6, first 2 shown]
	s_movk_i32 s4, 0x2b26
	s_movk_i32 s5, 0x3b00
	s_mov_b32 s6, 0xbcab
	s_movk_i32 s7, 0x39e0
	s_mov_b32 s12, 0xb9e0
	;; [unrolled: 2-line block ×3, first 2 shown]
	v_lshrrev_b32_e32 v82, 16, v19
	v_lshrrev_b32_e32 v83, 16, v21
	s_movk_i32 s18, 0x370e
	s_waitcnt vmcnt(0)
	s_barrier
	v_mul_f16_sdwa v86, v40, v0 dst_sel:DWORD dst_unused:UNUSED_PAD src0_sel:DWORD src1_sel:WORD_1
	v_fma_f16 v86, v38, v0, -v86
	v_mul_f16_sdwa v38, v38, v0 dst_sel:DWORD dst_unused:UNUSED_PAD src0_sel:DWORD src1_sel:WORD_1
	v_fma_f16 v38, v40, v0, v38
	v_mul_f16_sdwa v40, v39, v1 dst_sel:DWORD dst_unused:UNUSED_PAD src0_sel:DWORD src1_sel:WORD_1
	v_fma_f16 v40, v36, v1, -v40
	v_mul_f16_sdwa v36, v36, v1 dst_sel:DWORD dst_unused:UNUSED_PAD src0_sel:DWORD src1_sel:WORD_1
	v_fma_f16 v36, v39, v1, v36
	;; [unrolled: 4-line block ×4, first 2 shown]
	v_mul_f16_sdwa v48, v45, v29 dst_sel:DWORD dst_unused:UNUSED_PAD src0_sel:DWORD src1_sel:WORD_1
	v_fma_f16 v48, v42, v29, -v48
	v_mul_f16_sdwa v42, v42, v29 dst_sel:DWORD dst_unused:UNUSED_PAD src0_sel:DWORD src1_sel:WORD_1
	v_mul_f16_sdwa v87, v70, v8 dst_sel:DWORD dst_unused:UNUSED_PAD src0_sel:DWORD src1_sel:WORD_1
	;; [unrolled: 1-line block ×9, first 2 shown]
	v_fma_f16 v42, v45, v29, v42
	v_mul_f16_sdwa v45, v46, v30 dst_sel:DWORD dst_unused:UNUSED_PAD src0_sel:DWORD src1_sel:WORD_1
	v_mul_f16_sdwa v91, v72, v10 dst_sel:DWORD dst_unused:UNUSED_PAD src0_sel:DWORD src1_sel:WORD_1
	;; [unrolled: 1-line block ×5, first 2 shown]
	v_fma_f16 v14, v14, v8, -v87
	v_fma_f16 v70, v70, v8, v88
	v_fma_f16 v16, v16, v9, -v89
	v_fma_f16 v71, v71, v9, v90
	;; [unrolled: 2-line block ×4, first 2 shown]
	v_fma_f16 v45, v43, v30, -v45
	v_mul_f16_sdwa v43, v43, v30 dst_sel:DWORD dst_unused:UNUSED_PAD src0_sel:DWORD src1_sel:WORD_1
	v_fma_f16 v18, v18, v10, -v91
	v_fma_f16 v72, v72, v10, v92
	v_fma_f16 v20, v20, v11, -v93
	v_fma_f16 v73, v73, v11, v94
	v_fma_f16 v43, v46, v30, v43
	v_add_f16_e32 v46, v14, v24
	v_add_f16_e32 v87, v70, v75
	v_sub_f16_e32 v14, v14, v24
	v_sub_f16_e32 v24, v70, v75
	v_add_f16_e32 v70, v16, v22
	v_add_f16_e32 v75, v71, v74
	v_sub_f16_e32 v16, v16, v22
	v_sub_f16_e32 v22, v71, v74
	;; [unrolled: 4-line block ×4, first 2 shown]
	v_sub_f16_e32 v70, v71, v70
	v_add_f16_e32 v71, v71, v72
	v_add_f16_e32 v72, v74, v73
	;; [unrolled: 1-line block ×3, first 2 shown]
	v_add_f16_sdwa v12, v72, v12 dst_sel:DWORD dst_unused:UNUSED_PAD src0_sel:DWORD src1_sel:WORD_1
	v_sub_f16_e32 v89, v75, v87
	v_sub_f16_e32 v87, v87, v74
	;; [unrolled: 1-line block ×3, first 2 shown]
	v_add_f16_e32 v90, v18, v16
	v_add_f16_e32 v91, v20, v22
	v_sub_f16_e32 v92, v18, v16
	v_sub_f16_e32 v93, v20, v22
	;; [unrolled: 1-line block ×4, first 2 shown]
	v_lshlrev_b32_e32 v74, 16, v12
	v_sub_f16_e32 v18, v14, v18
	v_sub_f16_e32 v20, v24, v20
	v_add_f16_e32 v14, v90, v14
	v_add_f16_e32 v24, v91, v24
	v_or_b32_e32 v90, v74, v73
	v_mul_f16_e32 v46, 0x3a52, v46
	v_mul_f16_e32 v74, 0x3a52, v87
	;; [unrolled: 1-line block ×8, first 2 shown]
	v_mul_f16_sdwa v99, v76, v4 dst_sel:DWORD dst_unused:UNUSED_PAD src0_sel:DWORD src1_sel:WORD_1
	v_mul_f16_sdwa v100, v15, v4 dst_sel:DWORD dst_unused:UNUSED_PAD src0_sel:DWORD src1_sel:WORD_1
	;; [unrolled: 1-line block ×8, first 2 shown]
	v_fma_f16 v71, v71, s6, v73
	v_fma_f16 v12, v72, s6, v12
	;; [unrolled: 1-line block ×4, first 2 shown]
	v_fma_f16 v73, v88, s7, -v87
	v_fma_f16 v75, v89, s7, -v91
	;; [unrolled: 1-line block ×4, first 2 shown]
	v_fma_f16 v87, v18, s16, v92
	v_fma_f16 v88, v20, s16, v93
	v_fma_f16 v16, v16, s5, -v92
	v_fma_f16 v18, v18, s17, -v94
	;; [unrolled: 1-line block ×3, first 2 shown]
	v_mul_f16_sdwa v103, v82, v6 dst_sel:DWORD dst_unused:UNUSED_PAD src0_sel:DWORD src1_sel:WORD_1
	v_mul_f16_sdwa v104, v19, v6 dst_sel:DWORD dst_unused:UNUSED_PAD src0_sel:DWORD src1_sel:WORD_1
	;; [unrolled: 1-line block ×4, first 2 shown]
	v_fma_f16 v15, v15, v4, -v99
	v_fma_f16 v76, v76, v4, v100
	v_fma_f16 v17, v17, v5, -v101
	v_fma_f16 v77, v77, v5, v102
	;; [unrolled: 2-line block ×4, first 2 shown]
	v_add_f16_e32 v70, v70, v71
	v_add_f16_e32 v72, v72, v12
	;; [unrolled: 1-line block ×6, first 2 shown]
	v_fma_f16 v71, v14, s18, v87
	v_fma_f16 v16, v14, s18, v16
	;; [unrolled: 1-line block ×4, first 2 shown]
	v_fma_f16 v19, v19, v6, -v103
	v_fma_f16 v82, v82, v6, v104
	v_fma_f16 v21, v21, v7, -v105
	v_fma_f16 v83, v83, v7, v106
	;; [unrolled: 2-line block ×3, first 2 shown]
	v_add_f16_e32 v88, v18, v46
	v_sub_f16_e32 v89, v12, v14
	v_sub_f16_e32 v46, v46, v18
	v_add_f16_e32 v94, v14, v12
	v_add_f16_e32 v12, v15, v25
	;; [unrolled: 1-line block ×5, first 2 shown]
	v_fma_f16 v22, v24, s18, v22
	v_add_f16_e32 v24, v74, v70
	v_sub_f16_e32 v87, v72, v71
	v_add_f16_e32 v92, v16, v75
	v_sub_f16_e32 v93, v75, v16
	v_sub_f16_e32 v95, v70, v74
	v_add_f16_e32 v96, v71, v72
	v_sub_f16_e32 v15, v15, v25
	v_sub_f16_e32 v16, v76, v85
	;; [unrolled: 1-line block ×4, first 2 shown]
	v_add_f16_e32 v25, v19, v21
	v_add_f16_e32 v70, v82, v83
	v_sub_f16_e32 v19, v21, v19
	v_sub_f16_e32 v21, v83, v82
	v_add_f16_e32 v71, v18, v12
	v_add_f16_e32 v72, v20, v14
	v_sub_f16_e32 v91, v73, v22
	v_add_f16_e32 v22, v22, v73
	v_sub_f16_e32 v73, v18, v12
	v_sub_f16_e32 v74, v20, v14
	;; [unrolled: 1-line block ×6, first 2 shown]
	v_add_f16_e32 v75, v19, v17
	v_add_f16_e32 v76, v21, v23
	v_sub_f16_e32 v77, v19, v17
	v_sub_f16_e32 v82, v21, v23
	v_sub_f16_e32 v17, v17, v15
	v_sub_f16_e32 v23, v23, v16
	v_add_f16_e32 v25, v25, v71
	v_add_f16_e32 v70, v70, v72
	v_sub_f16_e32 v19, v15, v19
	v_sub_f16_e32 v21, v16, v21
	v_add_f16_e32 v15, v75, v15
	v_add_f16_e32 v16, v76, v16
	v_add_f16_e32 v83, v13, v25
	v_add_f16_sdwa v84, v13, v70 dst_sel:DWORD dst_unused:UNUSED_PAD src0_sel:WORD_1 src1_sel:DWORD
	v_mul_f16_e32 v12, 0x3a52, v12
	v_mul_f16_e32 v13, 0x3a52, v14
	;; [unrolled: 1-line block ×8, first 2 shown]
	v_fma_f16 v25, v25, s6, v83
	v_fma_f16 v70, v70, s6, v84
	;; [unrolled: 1-line block ×4, first 2 shown]
	v_fma_f16 v14, v73, s7, -v14
	v_fma_f16 v71, v74, s7, -v71
	;; [unrolled: 1-line block ×4, first 2 shown]
	v_fma_f16 v73, v19, s16, v72
	v_fma_f16 v74, v21, s16, v75
	v_fma_f16 v17, v17, s5, -v72
	v_fma_f16 v23, v23, s5, -v75
	;; [unrolled: 1-line block ×4, first 2 shown]
	v_add_f16_e32 v18, v18, v25
	v_add_f16_e32 v20, v20, v70
	;; [unrolled: 1-line block ×6, first 2 shown]
	v_fma_f16 v25, v15, s18, v73
	v_fma_f16 v70, v16, s18, v74
	;; [unrolled: 1-line block ×6, first 2 shown]
	v_add_f16_e32 v97, v16, v12
	v_sub_f16_e32 v98, v13, v15
	v_add_f16_e32 v100, v17, v71
	v_sub_f16_e32 v101, v71, v17
	v_sub_f16_e32 v102, v12, v16
	v_add_f16_e32 v103, v15, v13
	v_add_f16_e32 v12, v86, v45
	;; [unrolled: 1-line block ×6, first 2 shown]
	v_sub_f16_e32 v85, v20, v25
	v_sub_f16_e32 v104, v18, v70
	v_add_f16_e32 v25, v25, v20
	v_sub_f16_e32 v15, v38, v43
	v_sub_f16_e32 v18, v40, v48
	;; [unrolled: 1-line block ×3, first 2 shown]
	v_add_f16_e32 v20, v39, v47
	v_add_f16_e32 v21, v41, v44
	v_sub_f16_e32 v36, v47, v39
	v_sub_f16_e32 v38, v44, v41
	v_add_f16_e32 v39, v16, v12
	v_add_f16_e32 v40, v17, v13
	v_sub_f16_e32 v99, v14, v23
	v_add_f16_e32 v23, v23, v14
	v_sub_f16_e32 v14, v86, v45
	v_sub_f16_e32 v41, v16, v12
	;; [unrolled: 1-line block ×7, first 2 shown]
	v_add_f16_e32 v12, v36, v18
	v_add_f16_e32 v13, v38, v19
	v_sub_f16_e32 v47, v38, v19
	v_add_f16_e32 v20, v20, v39
	v_add_f16_e32 v21, v21, v40
	v_sub_f16_e32 v38, v15, v38
	v_sub_f16_e32 v19, v19, v15
	v_add_f16_e32 v39, v12, v14
	v_add_f16_e32 v40, v13, v15
	;; [unrolled: 1-line block ×4, first 2 shown]
	v_mul_f16_e32 v15, 0x3a52, v44
	v_mul_f16_e32 v26, 0x2b26, v16
	;; [unrolled: 1-line block ×4, first 2 shown]
	v_sub_f16_e32 v45, v36, v18
	v_fma_f16 v20, v20, s6, v12
	v_fma_f16 v21, v21, s6, v13
	v_fma_f16 v26, v41, s7, -v26
	v_fma_f16 v27, v42, s7, -v27
	;; [unrolled: 1-line block ×3, first 2 shown]
	v_fma_f16 v70, v38, s16, v44
	v_fma_f16 v44, v19, s5, -v44
	v_sub_f16_e32 v36, v14, v36
	v_sub_f16_e32 v18, v18, v14
	v_mul_f16_e32 v14, 0x3a52, v43
	v_mul_f16_e32 v43, 0xb846, v45
	v_mul_f16_e32 v47, 0x3b00, v19
	v_add_f16_e32 v26, v26, v20
	v_add_f16_e32 v19, v42, v21
	v_fma_f16 v42, v40, s18, v44
	v_mul_f16_e32 v45, 0x3b00, v18
	v_fma_f16 v48, v36, s16, v43
	v_fma_f16 v43, v18, s5, -v43
	v_fma_f16 v18, v40, s18, v70
	v_sub_f16_e32 v70, v26, v42
	v_add_f16_e32 v71, v42, v26
	v_mul_u32_u24_e32 v26, 0x77, v78
	v_add_lshl_u32 v78, v26, v79, 2
	v_pack_b32_f16 v24, v24, v87
	ds_write2_b32 v78, v90, v24 offset1:17
	v_pack_b32_f16 v24, v88, v89
	v_pack_b32_f16 v26, v91, v92
	ds_write2_b32 v78, v24, v26 offset0:34 offset1:51
	v_pack_b32_f16 v22, v22, v93
	v_pack_b32_f16 v24, v46, v94
	ds_write2_b32 v78, v22, v24 offset0:68 offset1:85
	v_pack_b32_f16 v22, v95, v96
	ds_write_b32 v78, v22 offset:408
	v_mul_u32_u24_e32 v22, 0x77, v80
	v_add_lshl_u32 v79, v22, v81, 2
	v_pack_b32_f16 v22, v83, v84
	v_pack_b32_f16 v24, v82, v85
	v_fma_f16 v16, v16, s4, v14
	v_fma_f16 v17, v17, s4, v15
	v_fma_f16 v41, v41, s12, -v14
	v_fma_f16 v36, v36, s17, -v45
	;; [unrolled: 1-line block ×3, first 2 shown]
	ds_write2_b32 v79, v22, v24 offset1:17
	v_pack_b32_f16 v22, v97, v98
	v_pack_b32_f16 v24, v99, v100
	v_add_f16_e32 v14, v16, v20
	v_add_f16_e32 v15, v17, v21
	;; [unrolled: 1-line block ×4, first 2 shown]
	v_fma_f16 v17, v39, s18, v48
	v_fma_f16 v41, v39, s18, v43
	;; [unrolled: 1-line block ×4, first 2 shown]
	ds_write2_b32 v79, v22, v24 offset0:34 offset1:51
	v_pack_b32_f16 v22, v23, v101
	v_pack_b32_f16 v23, v102, v103
	v_add_f16_e32 v74, v41, v27
	v_sub_f16_e32 v75, v27, v41
	v_sub_f16_e32 v72, v16, v21
	v_add_f16_e32 v73, v20, v19
	v_sub_f16_e32 v76, v14, v18
	v_add_f16_e32 v77, v17, v15
	ds_write2_b32 v79, v22, v23 offset0:68 offset1:85
	v_pack_b32_f16 v22, v104, v25
	ds_write_b32 v79, v22 offset:408
	s_and_saveexec_b64 s[4:5], vcc
	s_cbranch_execz .LBB0_5
; %bb.4:
	s_movk_i32 s6, 0x77
	v_sub_f16_e32 v15, v15, v17
	v_add_f16_e32 v14, v18, v14
	v_mad_legacy_u16 v17, v68, s6, v69
	s_mov_b32 s6, 0x5040100
	v_sub_f16_e32 v19, v19, v20
	v_add_f16_e32 v16, v21, v16
	v_lshlrev_b32_e32 v17, 2, v17
	v_perm_b32 v12, v13, v12, s6
	v_pack_b32_f16 v13, v14, v15
	ds_write2_b32 v17, v12, v13 offset1:17
	v_pack_b32_f16 v12, v16, v19
	v_perm_b32 v13, v74, v70, s6
	ds_write2_b32 v17, v12, v13 offset0:34 offset1:51
	v_perm_b32 v12, v75, v71, s6
	v_perm_b32 v13, v73, v72, s6
	ds_write2_b32 v17, v12, v13 offset0:68 offset1:85
	v_perm_b32 v12, v77, v76, s6
	ds_write_b32 v17, v12 offset:408
.LBB0_5:
	s_or_b64 exec, exec, s[4:5]
	v_lshlrev_b32_e32 v24, 6, v66
	s_waitcnt lgkmcnt(0)
	s_barrier
	global_load_dwordx4 v[12:15], v24, s[14:15] offset:408
	global_load_dwordx4 v[16:19], v24, s[14:15] offset:424
	;; [unrolled: 1-line block ×3, first 2 shown]
	ds_read2_b32 v[87:88], v49 offset1:119
	global_load_dwordx4 v[24:27], v24, s[14:15] offset:456
	v_add_u32_e32 v36, 0x200, v49
	v_add_u32_e32 v39, 0x600, v49
	;; [unrolled: 1-line block ×7, first 2 shown]
	ds_read_b32 v95, v49 offset:7616
	ds_read2_b32 v[45:46], v36 offset0:110 offset1:229
	ds_read2_b32 v[47:48], v39 offset0:92 offset1:211
	;; [unrolled: 1-line block ×7, first 2 shown]
	s_waitcnt lgkmcnt(8)
	v_lshrrev_b32_e32 v82, 16, v88
	s_waitcnt lgkmcnt(6)
	v_lshrrev_b32_e32 v85, 16, v45
	v_lshrrev_b32_e32 v86, 16, v46
	s_waitcnt lgkmcnt(3)
	v_lshrrev_b32_e32 v101, 16, v83
	s_waitcnt lgkmcnt(2)
	v_lshrrev_b32_e32 v103, 16, v89
	v_lshrrev_b32_e32 v104, 16, v90
	s_waitcnt lgkmcnt(1)
	v_lshrrev_b32_e32 v105, 16, v91
	v_lshrrev_b32_e32 v99, 16, v80
	;; [unrolled: 1-line block ×5, first 2 shown]
	s_waitcnt lgkmcnt(0)
	v_lshrrev_b32_e32 v107, 16, v93
	v_lshrrev_b32_e32 v108, 16, v94
	v_lshrrev_b32_e32 v102, 16, v84
	v_lshrrev_b32_e32 v96, 16, v95
	v_lshrrev_b32_e32 v98, 16, v48
	v_mov_b32_e32 v44, s13
	s_movk_i32 s12, 0x3b76
	s_movk_i32 s6, 0x39e9
	;; [unrolled: 1-line block ×4, first 2 shown]
	s_mov_b32 s7, 0xb461
	s_mov_b32 s13, 0xb8d2
	;; [unrolled: 1-line block ×4, first 2 shown]
	v_addc_co_u32_e64 v44, s[0:1], 0, v44, s[0:1]
	s_movk_i32 s0, 0x1000
	s_mov_b32 s21, 0xb5c8
	s_mov_b32 s19, 0xb964
	s_mov_b32 s17, 0xbb29
	s_mov_b32 s26, 0xbbf7
	s_mov_b32 s16, 0xbbb2
	s_mov_b32 s18, 0xba62
	s_mov_b32 s20, 0xb836
	s_mov_b32 s22, 0xb1e1
	s_movk_i32 s23, 0x3836
	s_movk_i32 s24, 0x35c8
	;; [unrolled: 1-line block ×6, first 2 shown]
	s_waitcnt vmcnt(3)
	v_mul_f16_sdwa v109, v82, v12 dst_sel:DWORD dst_unused:UNUSED_PAD src0_sel:DWORD src1_sel:WORD_1
	v_mul_f16_sdwa v110, v88, v12 dst_sel:DWORD dst_unused:UNUSED_PAD src0_sel:DWORD src1_sel:WORD_1
	;; [unrolled: 1-line block ×5, first 2 shown]
	s_waitcnt vmcnt(2)
	v_mul_f16_sdwa v123, v101, v19 dst_sel:DWORD dst_unused:UNUSED_PAD src0_sel:DWORD src1_sel:WORD_1
	s_waitcnt vmcnt(1)
	v_mul_f16_sdwa v127, v103, v21 dst_sel:DWORD dst_unused:UNUSED_PAD src0_sel:DWORD src1_sel:WORD_1
	v_fma_f16 v88, v88, v12, -v109
	v_fma_f16 v109, v82, v12, v110
	v_fma_f16 v110, v45, v13, -v111
	v_mul_f16_sdwa v45, v104, v22 dst_sel:DWORD dst_unused:UNUSED_PAD src0_sel:DWORD src1_sel:WORD_1
	v_mul_f16_sdwa v114, v46, v14 dst_sel:DWORD dst_unused:UNUSED_PAD src0_sel:DWORD src1_sel:WORD_1
	;; [unrolled: 1-line block ×4, first 2 shown]
	v_fma_f16 v111, v85, v13, v112
	v_fma_f16 v112, v46, v14, -v113
	v_fma_f16 v46, v83, v19, -v123
	;; [unrolled: 1-line block ×4, first 2 shown]
	v_mul_f16_sdwa v45, v90, v22 dst_sel:DWORD dst_unused:UNUSED_PAD src0_sel:DWORD src1_sel:WORD_1
	v_mul_f16_sdwa v120, v80, v17 dst_sel:DWORD dst_unused:UNUSED_PAD src0_sel:DWORD src1_sel:WORD_1
	v_fma_f16 v90, v104, v22, v45
	v_mul_f16_sdwa v45, v105, v23 dst_sel:DWORD dst_unused:UNUSED_PAD src0_sel:DWORD src1_sel:WORD_1
	v_mul_f16_sdwa v119, v99, v17 dst_sel:DWORD dst_unused:UNUSED_PAD src0_sel:DWORD src1_sel:WORD_1
	v_fma_f16 v113, v86, v14, v114
	v_fma_f16 v86, v99, v17, v120
	v_fma_f16 v99, v91, v23, -v45
	v_mul_f16_sdwa v45, v91, v23 dst_sel:DWORD dst_unused:UNUSED_PAD src0_sel:DWORD src1_sel:WORD_1
	v_mul_f16_sdwa v122, v81, v18 dst_sel:DWORD dst_unused:UNUSED_PAD src0_sel:DWORD src1_sel:WORD_1
	v_fma_f16 v91, v105, v23, v45
	s_waitcnt vmcnt(0)
	v_mul_f16_sdwa v45, v106, v24 dst_sel:DWORD dst_unused:UNUSED_PAD src0_sel:DWORD src1_sel:WORD_1
	v_mul_f16_sdwa v121, v100, v18 dst_sel:DWORD dst_unused:UNUSED_PAD src0_sel:DWORD src1_sel:WORD_1
	v_fma_f16 v82, v100, v18, v122
	v_fma_f16 v100, v92, v24, -v45
	v_mul_f16_sdwa v45, v92, v24 dst_sel:DWORD dst_unused:UNUSED_PAD src0_sel:DWORD src1_sel:WORD_1
	v_mul_f16_sdwa v115, v97, v15 dst_sel:DWORD dst_unused:UNUSED_PAD src0_sel:DWORD src1_sel:WORD_1
	v_fma_f16 v92, v106, v24, v45
	v_mul_f16_sdwa v45, v107, v25 dst_sel:DWORD dst_unused:UNUSED_PAD src0_sel:DWORD src1_sel:WORD_1
	v_mul_f16_sdwa v116, v47, v15 dst_sel:DWORD dst_unused:UNUSED_PAD src0_sel:DWORD src1_sel:WORD_1
	v_fma_f16 v114, v47, v15, -v115
	v_fma_f16 v47, v101, v19, v124
	v_fma_f16 v101, v93, v25, -v45
	v_mul_f16_sdwa v45, v93, v25 dst_sel:DWORD dst_unused:UNUSED_PAD src0_sel:DWORD src1_sel:WORD_1
	v_mul_f16_sdwa v126, v84, v20 dst_sel:DWORD dst_unused:UNUSED_PAD src0_sel:DWORD src1_sel:WORD_1
	v_fma_f16 v93, v107, v25, v45
	v_mul_f16_sdwa v45, v108, v26 dst_sel:DWORD dst_unused:UNUSED_PAD src0_sel:DWORD src1_sel:WORD_1
	v_mul_f16_sdwa v125, v102, v20 dst_sel:DWORD dst_unused:UNUSED_PAD src0_sel:DWORD src1_sel:WORD_1
	v_fma_f16 v85, v80, v17, -v119
	;; [unrolled: 8-line block ×3, first 2 shown]
	v_fma_f16 v48, v84, v20, -v125
	v_fma_f16 v84, v103, v21, v128
	v_fma_f16 v103, v95, v27, -v45
	v_mul_f16_sdwa v45, v95, v27 dst_sel:DWORD dst_unused:UNUSED_PAD src0_sel:DWORD src1_sel:WORD_1
	v_fma_f16 v95, v96, v27, v45
	v_add_f16_e32 v45, v88, v87
	v_add_f16_sdwa v96, v109, v87 dst_sel:DWORD dst_unused:UNUSED_PAD src0_sel:DWORD src1_sel:WORD_1
	v_add_f16_e32 v45, v45, v110
	v_add_f16_e32 v96, v96, v111
	v_fma_f16 v97, v97, v15, v116
	v_add_f16_e32 v45, v45, v112
	v_add_f16_e32 v96, v96, v113
	v_fma_f16 v98, v98, v16, v118
	v_add_f16_e32 v45, v45, v114
	v_add_f16_e32 v96, v96, v97
	;; [unrolled: 1-line block ×4, first 2 shown]
	v_fma_f16 v81, v81, v18, -v121
	v_add_f16_e32 v45, v45, v85
	v_add_f16_e32 v96, v96, v86
	;; [unrolled: 1-line block ×21, first 2 shown]
	v_add_f16_sdwa v96, v96, v95 dst_sel:WORD_1 dst_unused:UNUSED_PAD src0_sel:DWORD src1_sel:DWORD
	v_or_b32_e32 v45, v96, v45
	v_add_f16_e32 v96, v88, v103
	v_add_f16_e32 v104, v109, v95
	v_sub_f16_e32 v88, v88, v103
	v_sub_f16_e32 v95, v109, v95
	v_mul_f16_e32 v103, 0xb5c8, v95
	v_mul_f16_e32 v106, 0xb5c8, v88
	;; [unrolled: 1-line block ×16, first 2 shown]
	v_fma_f16 v105, v96, s12, -v103
	v_fma_f16 v107, v104, s12, v106
	v_fma_f16 v103, v96, s12, v103
	v_fma_f16 v106, v104, s12, -v106
	v_fma_f16 v109, v96, s6, -v108
	v_fma_f16 v117, v104, s6, v116
	v_fma_f16 v108, v96, s6, v108
	v_fma_f16 v116, v104, s6, -v116
	v_fma_f16 v119, v96, s5, -v118
	v_fma_f16 v121, v104, s5, v120
	v_fma_f16 v118, v96, s5, v118
	v_fma_f16 v120, v104, s5, -v120
	v_fma_f16 v123, v96, s4, -v122
	v_fma_f16 v125, v104, s4, v124
	v_fma_f16 v122, v96, s4, v122
	v_fma_f16 v124, v104, s4, -v124
	v_fma_f16 v127, v96, s7, -v126
	v_fma_f16 v129, v104, s7, v128
	v_fma_f16 v126, v96, s7, v126
	v_fma_f16 v128, v104, s7, -v128
	v_fma_f16 v131, v96, s13, -v130
	v_fma_f16 v133, v104, s13, v132
	v_fma_f16 v130, v96, s13, v130
	v_fma_f16 v132, v104, s13, -v132
	v_fma_f16 v135, v96, s14, -v134
	v_fma_f16 v137, v104, s14, v136
	v_fma_f16 v134, v96, s14, v134
	v_fma_f16 v136, v104, s14, -v136
	v_fma_f16 v138, v96, s15, -v95
	v_fma_f16 v139, v104, s15, v88
	v_fma_f16 v95, v96, s15, v95
	v_fma_f16 v88, v104, s15, -v88
	v_add_f16_e32 v96, v111, v94
	v_sub_f16_e32 v94, v111, v94
	v_add_f16_e32 v105, v105, v87
	v_add_f16_sdwa v107, v107, v87 dst_sel:DWORD dst_unused:UNUSED_PAD src0_sel:DWORD src1_sel:WORD_1
	v_add_f16_e32 v103, v103, v87
	v_add_f16_sdwa v106, v106, v87 dst_sel:DWORD dst_unused:UNUSED_PAD src0_sel:DWORD src1_sel:WORD_1
	;; [unrolled: 2-line block ×16, first 2 shown]
	v_add_f16_e32 v88, v110, v102
	v_mul_f16_e32 v104, 0xb964, v94
	v_sub_f16_e32 v102, v110, v102
	v_fma_f16 v110, v88, s6, -v104
	v_add_f16_e32 v105, v110, v105
	v_mul_f16_e32 v110, 0xb964, v102
	v_fma_f16 v104, v88, s6, v104
	v_add_f16_e32 v103, v104, v103
	v_fma_f16 v104, v96, s6, -v110
	v_add_f16_e32 v104, v104, v106
	v_mul_f16_e32 v106, 0xbbf7, v94
	v_fma_f16 v111, v96, s6, v110
	v_fma_f16 v110, v88, s4, -v106
	v_add_f16_e32 v109, v110, v109
	v_mul_f16_e32 v110, 0xbbf7, v102
	v_fma_f16 v106, v88, s4, v106
	v_add_f16_e32 v107, v111, v107
	v_fma_f16 v111, v96, s4, v110
	v_add_f16_e32 v106, v106, v108
	v_fma_f16 v108, v96, s4, -v110
	v_mul_f16_e32 v110, 0xba62, v94
	v_add_f16_e32 v111, v111, v117
	v_add_f16_e32 v108, v108, v116
	v_fma_f16 v116, v88, s13, -v110
	v_mul_f16_e32 v117, 0xba62, v102
	v_fma_f16 v110, v88, s13, v110
	v_add_f16_e32 v116, v116, v119
	v_fma_f16 v119, v96, s13, v117
	v_add_f16_e32 v110, v110, v118
	v_fma_f16 v117, v96, s13, -v117
	v_mul_f16_e32 v118, 0xb1e1, v94
	v_add_f16_e32 v119, v119, v121
	v_add_f16_e32 v117, v117, v120
	v_fma_f16 v120, v88, s15, -v118
	;; [unrolled: 10-line block ×4, first 2 shown]
	v_mul_f16_e32 v129, 0x3bb2, v102
	v_fma_f16 v126, v88, s7, v126
	v_add_f16_e32 v128, v128, v131
	v_fma_f16 v131, v96, s7, v129
	v_add_f16_e32 v126, v126, v130
	v_fma_f16 v129, v96, s7, -v129
	v_mul_f16_e32 v130, 0x3b29, v94
	v_add_f16_e32 v129, v129, v132
	v_fma_f16 v132, v88, s5, -v130
	v_fma_f16 v130, v88, s5, v130
	v_mul_f16_e32 v94, 0x35c8, v94
	v_add_f16_e32 v131, v131, v133
	v_mul_f16_e32 v133, 0x3b29, v102
	v_add_f16_e32 v130, v130, v134
	v_fma_f16 v134, v88, s12, -v94
	v_mul_f16_e32 v102, 0x35c8, v102
	v_fma_f16 v88, v88, s12, v94
	v_add_f16_e32 v132, v132, v135
	v_fma_f16 v135, v96, s5, v133
	v_fma_f16 v133, v96, s5, -v133
	v_add_f16_e32 v88, v88, v95
	v_fma_f16 v94, v96, s12, -v102
	v_add_f16_e32 v95, v113, v93
	v_sub_f16_e32 v93, v113, v93
	v_add_f16_e32 v133, v133, v136
	v_fma_f16 v136, v96, s12, v102
	v_add_f16_e32 v87, v94, v87
	v_add_f16_e32 v94, v112, v101
	v_sub_f16_e32 v96, v112, v101
	v_mul_f16_e32 v101, 0xbb29, v93
	v_fma_f16 v102, v94, s5, -v101
	v_add_f16_e32 v102, v102, v105
	v_mul_f16_e32 v105, 0xbb29, v96
	v_fma_f16 v101, v94, s5, v101
	v_add_f16_e32 v101, v101, v103
	v_fma_f16 v103, v95, s5, -v105
	v_add_f16_e32 v103, v103, v104
	v_mul_f16_e32 v104, 0xba62, v93
	v_fma_f16 v112, v95, s5, v105
	v_fma_f16 v105, v94, s13, -v104
	v_add_f16_e32 v105, v105, v109
	v_mul_f16_e32 v109, 0xba62, v96
	v_fma_f16 v104, v94, s13, v104
	v_add_f16_e32 v104, v104, v106
	v_fma_f16 v106, v95, s13, -v109
	v_add_f16_e32 v107, v112, v107
	v_fma_f16 v112, v95, s13, v109
	v_add_f16_e32 v106, v106, v108
	v_mul_f16_e32 v108, 0x31e1, v93
	v_add_f16_e32 v111, v112, v111
	v_fma_f16 v109, v94, s15, -v108
	v_mul_f16_e32 v112, 0x31e1, v96
	v_fma_f16 v108, v94, s15, v108
	v_fma_f16 v113, v95, s15, v112
	v_add_f16_e32 v108, v108, v110
	v_fma_f16 v110, v95, s15, -v112
	v_mul_f16_e32 v112, 0x3bb2, v93
	v_add_f16_e32 v109, v109, v116
	v_fma_f16 v116, v94, s7, -v112
	v_fma_f16 v112, v94, s7, v112
	v_add_f16_e32 v110, v110, v117
	v_mul_f16_e32 v117, 0x3bb2, v96
	v_add_f16_e32 v112, v112, v118
	v_mul_f16_e32 v118, 0x3964, v93
	v_add_f16_e32 v113, v113, v119
	v_add_f16_e32 v116, v116, v120
	v_fma_f16 v119, v95, s7, v117
	v_fma_f16 v117, v95, s7, -v117
	v_fma_f16 v120, v94, s6, -v118
	v_fma_f16 v118, v94, s6, v118
	v_add_f16_e32 v117, v117, v121
	v_mul_f16_e32 v121, 0x3964, v96
	v_add_f16_e32 v118, v118, v122
	v_mul_f16_e32 v122, 0xb5c8, v93
	v_add_f16_e32 v119, v119, v123
	v_add_f16_e32 v120, v120, v124
	v_fma_f16 v123, v95, s6, v121
	v_fma_f16 v121, v95, s6, -v121
	;; [unrolled: 10-line block ×3, first 2 shown]
	v_fma_f16 v128, v94, s4, -v126
	v_fma_f16 v126, v94, s4, v126
	v_mul_f16_e32 v93, 0xb836, v93
	v_add_f16_e32 v125, v125, v129
	v_mul_f16_e32 v129, 0xbbf7, v96
	v_add_f16_e32 v126, v126, v130
	v_fma_f16 v130, v94, s14, -v93
	v_mul_f16_e32 v96, 0xb836, v96
	v_fma_f16 v93, v94, s14, v93
	v_add_f16_e32 v88, v93, v88
	v_fma_f16 v93, v95, s14, -v96
	v_add_f16_e32 v94, v97, v92
	v_sub_f16_e32 v92, v97, v92
	v_add_f16_e32 v127, v127, v131
	v_add_f16_e32 v128, v128, v132
	v_fma_f16 v131, v95, s4, v129
	v_fma_f16 v129, v95, s4, -v129
	v_fma_f16 v132, v95, s14, v96
	v_add_f16_e32 v87, v93, v87
	v_add_f16_e32 v93, v114, v100
	v_sub_f16_e32 v95, v114, v100
	v_mul_f16_e32 v96, 0xbbf7, v92
	v_fma_f16 v97, v93, s4, -v96
	v_mul_f16_e32 v100, 0xbbf7, v95
	v_fma_f16 v96, v93, s4, v96
	v_add_f16_e32 v97, v97, v102
	v_fma_f16 v102, v94, s4, v100
	v_add_f16_e32 v96, v96, v101
	v_fma_f16 v100, v94, s4, -v100
	v_mul_f16_e32 v101, 0xb1e1, v92
	v_add_f16_e32 v100, v100, v103
	v_fma_f16 v103, v93, s15, -v101
	v_add_f16_e32 v103, v103, v105
	v_mul_f16_e32 v105, 0xb1e1, v95
	v_fma_f16 v101, v93, s15, v101
	v_add_f16_e32 v102, v102, v107
	v_fma_f16 v107, v94, s15, v105
	v_add_f16_e32 v101, v101, v104
	v_fma_f16 v104, v94, s15, -v105
	v_mul_f16_e32 v105, 0x3bb2, v92
	v_add_f16_e32 v104, v104, v106
	v_fma_f16 v106, v93, s7, -v105
	v_add_f16_e32 v106, v106, v109
	v_mul_f16_e32 v109, 0x3bb2, v95
	v_fma_f16 v105, v93, s7, v105
	v_add_f16_e32 v107, v107, v111
	v_fma_f16 v111, v94, s7, v109
	v_add_f16_e32 v105, v105, v108
	v_fma_f16 v108, v94, s7, -v109
	v_mul_f16_e32 v109, 0x35c8, v92
	v_add_f16_e32 v111, v111, v113
	v_add_f16_e32 v108, v108, v110
	v_fma_f16 v110, v93, s12, -v109
	v_mul_f16_e32 v113, 0x35c8, v95
	v_fma_f16 v109, v93, s12, v109
	v_fma_f16 v114, v94, s12, v113
	v_add_f16_e32 v109, v109, v112
	v_fma_f16 v112, v94, s12, -v113
	v_mul_f16_e32 v113, 0xbb29, v92
	v_add_f16_e32 v110, v110, v116
	v_fma_f16 v116, v93, s5, -v113
	v_fma_f16 v113, v93, s5, v113
	v_add_f16_e32 v112, v112, v117
	v_mul_f16_e32 v117, 0xbb29, v95
	v_add_f16_e32 v113, v113, v118
	v_mul_f16_e32 v118, 0xb836, v92
	v_add_f16_e32 v114, v114, v119
	v_add_f16_e32 v116, v116, v120
	v_fma_f16 v119, v94, s5, v117
	v_fma_f16 v117, v94, s5, -v117
	v_fma_f16 v120, v93, s14, -v118
	v_fma_f16 v118, v93, s14, v118
	v_add_f16_e32 v117, v117, v121
	v_mul_f16_e32 v121, 0xb836, v95
	v_add_f16_e32 v118, v118, v122
	v_mul_f16_e32 v122, 0x3a62, v92
	v_add_f16_e32 v119, v119, v123
	v_add_f16_e32 v120, v120, v124
	v_fma_f16 v123, v94, s14, v121
	v_fma_f16 v121, v94, s14, -v121
	v_fma_f16 v124, v93, s13, -v122
	v_fma_f16 v122, v93, s13, v122
	v_mul_f16_e32 v92, 0x3964, v92
	v_add_f16_e32 v121, v121, v125
	v_mul_f16_e32 v125, 0x3a62, v95
	v_add_f16_e32 v122, v122, v126
	v_fma_f16 v126, v93, s6, -v92
	v_mul_f16_e32 v95, 0x3964, v95
	v_fma_f16 v92, v93, s6, v92
	v_add_f16_e32 v88, v92, v88
	v_fma_f16 v92, v94, s6, -v95
	v_add_f16_e32 v93, v98, v91
	v_sub_f16_e32 v91, v98, v91
	v_add_f16_e32 v124, v124, v128
	v_fma_f16 v128, v94, s6, v95
	v_add_f16_e32 v87, v92, v87
	v_add_f16_e32 v92, v115, v99
	v_mul_f16_e32 v95, 0xbbb2, v91
	v_add_f16_e32 v123, v123, v127
	v_fma_f16 v127, v94, s13, v125
	v_fma_f16 v125, v94, s13, -v125
	v_sub_f16_e32 v94, v115, v99
	v_fma_f16 v98, v92, s7, -v95
	v_add_f16_e32 v97, v98, v97
	v_mul_f16_e32 v98, 0xbbb2, v94
	v_fma_f16 v95, v92, s7, v95
	v_fma_f16 v99, v93, s7, v98
	v_add_f16_e32 v95, v95, v96
	v_fma_f16 v96, v93, s7, -v98
	v_mul_f16_e32 v98, 0x3836, v91
	v_add_f16_e32 v99, v99, v102
	v_add_f16_e32 v96, v96, v100
	v_fma_f16 v100, v92, s14, -v98
	v_mul_f16_e32 v102, 0x3836, v94
	v_fma_f16 v98, v92, s14, v98
	v_add_f16_e32 v100, v100, v103
	v_fma_f16 v103, v93, s14, v102
	v_add_f16_e32 v98, v98, v101
	v_fma_f16 v101, v93, s14, -v102
	v_mul_f16_e32 v102, 0x3964, v91
	v_add_f16_e32 v101, v101, v104
	v_fma_f16 v104, v92, s6, -v102
	v_add_f16_e32 v104, v104, v106
	v_mul_f16_e32 v106, 0x3964, v94
	v_fma_f16 v102, v92, s6, v102
	v_add_f16_e32 v103, v103, v107
	v_fma_f16 v107, v93, s6, v106
	v_add_f16_e32 v102, v102, v105
	v_fma_f16 v105, v93, s6, -v106
	v_mul_f16_e32 v106, 0xbb29, v91
	v_add_f16_e32 v105, v105, v108
	v_fma_f16 v108, v92, s5, -v106
	v_add_f16_e32 v108, v108, v110
	v_mul_f16_e32 v110, 0xbb29, v94
	v_fma_f16 v106, v92, s5, v106
	v_add_f16_e32 v107, v107, v111
	v_fma_f16 v111, v93, s5, v110
	v_add_f16_e32 v106, v106, v109
	v_fma_f16 v109, v93, s5, -v110
	v_mul_f16_e32 v110, 0xb1e1, v91
	v_add_f16_e32 v111, v111, v114
	v_add_f16_e32 v109, v109, v112
	v_fma_f16 v112, v92, s15, -v110
	v_mul_f16_e32 v114, 0xb1e1, v94
	v_fma_f16 v110, v92, s15, v110
	v_fma_f16 v115, v93, s15, v114
	v_add_f16_e32 v110, v110, v113
	v_fma_f16 v113, v93, s15, -v114
	v_mul_f16_e32 v114, 0x3bf7, v91
	v_add_f16_e32 v112, v112, v116
	v_fma_f16 v116, v92, s4, -v114
	v_fma_f16 v114, v92, s4, v114
	v_add_f16_e32 v113, v113, v117
	v_mul_f16_e32 v117, 0x3bf7, v94
	v_add_f16_e32 v114, v114, v118
	v_mul_f16_e32 v118, 0xb5c8, v91
	v_add_f16_e32 v115, v115, v119
	v_add_f16_e32 v116, v116, v120
	v_fma_f16 v119, v93, s4, v117
	v_fma_f16 v117, v93, s4, -v117
	v_fma_f16 v120, v92, s12, -v118
	v_fma_f16 v118, v92, s12, v118
	v_mul_f16_e32 v91, 0xba62, v91
	v_add_f16_e32 v117, v117, v121
	v_mul_f16_e32 v121, 0xb5c8, v94
	v_add_f16_e32 v118, v118, v122
	v_fma_f16 v122, v92, s13, -v91
	v_mul_f16_e32 v94, 0xba62, v94
	v_fma_f16 v91, v92, s13, v91
	v_add_f16_e32 v88, v91, v88
	v_fma_f16 v91, v93, s13, -v94
	v_add_f16_e32 v92, v86, v90
	v_sub_f16_e32 v86, v86, v90
	v_add_f16_e32 v87, v91, v87
	v_add_f16_e32 v91, v85, v89
	v_sub_f16_e32 v85, v85, v89
	v_mul_f16_e32 v89, 0xba62, v86
	v_add_f16_e32 v119, v119, v123
	v_add_f16_e32 v120, v120, v124
	v_fma_f16 v123, v93, s12, v121
	v_fma_f16 v121, v93, s12, -v121
	v_fma_f16 v124, v93, s13, v94
	v_fma_f16 v90, v91, s13, -v89
	v_mul_f16_e32 v93, 0xba62, v85
	v_fma_f16 v89, v91, s13, v89
	v_fma_f16 v94, v92, s13, v93
	v_add_f16_e32 v89, v89, v95
	v_fma_f16 v93, v92, s13, -v93
	v_mul_f16_e32 v95, 0x3bb2, v86
	v_add_f16_e32 v93, v93, v96
	v_fma_f16 v96, v91, s7, -v95
	v_fma_f16 v95, v91, s7, v95
	v_add_f16_e32 v90, v90, v97
	v_mul_f16_e32 v97, 0x3bb2, v85
	v_add_f16_e32 v95, v95, v98
	v_mul_f16_e32 v98, 0xb5c8, v86
	v_add_f16_e32 v94, v94, v99
	v_add_f16_e32 v96, v96, v100
	v_fma_f16 v99, v92, s7, v97
	v_fma_f16 v97, v92, s7, -v97
	v_fma_f16 v100, v91, s12, -v98
	v_fma_f16 v98, v91, s12, v98
	v_add_f16_e32 v97, v97, v101
	v_mul_f16_e32 v101, 0xb5c8, v85
	v_add_f16_e32 v98, v98, v102
	v_mul_f16_e32 v102, 0xb836, v86
	v_add_f16_e32 v99, v99, v103
	v_add_f16_e32 v100, v100, v104
	v_fma_f16 v103, v92, s12, v101
	v_fma_f16 v101, v92, s12, -v101
	;; [unrolled: 10-line block ×5, first 2 shown]
	v_fma_f16 v116, v91, s15, -v114
	v_fma_f16 v114, v91, s15, v114
	v_mul_f16_e32 v86, 0x3b29, v86
	v_add_f16_e32 v113, v113, v117
	v_mul_f16_e32 v117, 0xb1e1, v85
	v_add_f16_e32 v114, v114, v118
	v_fma_f16 v118, v91, s5, -v86
	v_mul_f16_e32 v85, 0x3b29, v85
	v_fma_f16 v86, v91, s5, v86
	v_add_f16_e32 v116, v116, v120
	v_fma_f16 v120, v92, s5, v85
	v_add_f16_e32 v86, v86, v88
	v_fma_f16 v85, v92, s5, -v85
	v_add_f16_e32 v88, v82, v84
	v_sub_f16_e32 v82, v82, v84
	v_add_f16_e32 v85, v85, v87
	v_add_f16_e32 v87, v81, v83
	v_sub_f16_e32 v81, v81, v83
	v_mul_f16_e32 v83, 0xb836, v82
	v_fma_f16 v84, v87, s14, -v83
	v_add_f16_e32 v84, v84, v90
	v_mul_f16_e32 v90, 0xb836, v81
	v_fma_f16 v83, v87, s14, v83
	v_fma_f16 v91, v88, s14, v90
	v_add_f16_e32 v83, v83, v89
	v_fma_f16 v89, v88, s14, -v90
	v_mul_f16_e32 v90, 0x3b29, v82
	v_add_f16_e32 v115, v115, v119
	v_fma_f16 v119, v92, s15, v117
	v_fma_f16 v117, v92, s15, -v117
	v_fma_f16 v92, v87, s5, -v90
	v_fma_f16 v90, v87, s5, v90
	v_add_f16_e32 v89, v89, v93
	v_mul_f16_e32 v93, 0x3b29, v81
	v_add_f16_e32 v90, v90, v95
	v_mul_f16_e32 v95, 0xbbf7, v82
	v_add_f16_e32 v91, v91, v94
	v_add_f16_e32 v92, v92, v96
	v_fma_f16 v94, v88, s5, v93
	v_fma_f16 v93, v88, s5, -v93
	v_fma_f16 v96, v87, s4, -v95
	v_fma_f16 v95, v87, s4, v95
	v_add_f16_e32 v93, v93, v97
	v_mul_f16_e32 v97, 0xbbf7, v81
	v_add_f16_e32 v95, v95, v98
	v_mul_f16_e32 v98, 0x3a62, v82
	v_add_f16_e32 v94, v94, v99
	;; [unrolled: 10-line block ×5, first 2 shown]
	v_add_f16_e32 v108, v108, v112
	v_fma_f16 v111, v88, s15, v109
	v_fma_f16 v109, v88, s15, -v109
	v_fma_f16 v112, v87, s6, -v110
	v_fma_f16 v110, v87, s6, v110
	v_mul_f16_e32 v82, 0xbbb2, v82
	v_add_f16_e32 v109, v109, v113
	v_mul_f16_e32 v113, 0x3964, v81
	v_add_f16_e32 v110, v110, v114
	v_fma_f16 v114, v87, s7, -v82
	v_mul_f16_e32 v81, 0xbbb2, v81
	v_fma_f16 v82, v87, s7, v82
	v_add_f16_e32 v112, v112, v116
	v_fma_f16 v116, v88, s7, v81
	v_add_f16_e32 v82, v82, v86
	v_fma_f16 v81, v88, s7, -v81
	v_add_f16_e32 v86, v47, v80
	v_sub_f16_e32 v47, v47, v80
	v_add_f16_e32 v81, v81, v85
	v_add_f16_e32 v85, v46, v48
	v_sub_f16_e32 v46, v46, v48
	v_mul_f16_e32 v48, 0xb1e1, v47
	v_fma_f16 v80, v85, s15, -v48
	v_add_f16_e32 v80, v80, v84
	v_mul_f16_e32 v84, 0xb1e1, v46
	v_fma_f16 v48, v85, s15, v48
	v_add_f16_e32 v48, v48, v83
	v_fma_f16 v83, v86, s15, -v84
	v_fma_f16 v87, v86, s15, v84
	v_add_f16_e32 v83, v83, v89
	v_mul_f16_e32 v84, 0x35c8, v47
	v_mul_f16_e32 v89, 0x35c8, v46
	v_add_f16_e32 v111, v111, v115
	v_fma_f16 v115, v88, s6, v113
	v_fma_f16 v113, v88, s6, -v113
	v_add_f16_e32 v87, v87, v91
	v_fma_f16 v88, v85, s12, -v84
	v_fma_f16 v91, v86, s12, v89
	v_fma_f16 v84, v85, s12, v84
	v_fma_f16 v89, v86, s12, -v89
	v_add_f16_e32 v84, v84, v90
	v_add_f16_e32 v89, v89, v93
	v_mul_f16_e32 v90, 0xb836, v47
	v_mul_f16_e32 v93, 0xb836, v46
	v_add_f16_e32 v88, v88, v92
	v_add_f16_e32 v91, v91, v94
	v_fma_f16 v92, v85, s14, -v90
	v_fma_f16 v94, v86, s14, v93
	v_fma_f16 v90, v85, s14, v90
	v_fma_f16 v93, v86, s14, -v93
	v_add_f16_e32 v90, v90, v95
	v_add_f16_e32 v93, v93, v97
	v_mul_f16_e32 v95, 0x3964, v47
	v_mul_f16_e32 v97, 0x3964, v46
	v_add_f16_e32 v92, v92, v96
	v_add_f16_e32 v94, v94, v99
	v_fma_f16 v96, v85, s6, -v95
	v_fma_f16 v99, v86, s6, v97
	v_fma_f16 v95, v85, s6, v95
	v_fma_f16 v97, v86, s6, -v97
	v_add_f16_e32 v135, v135, v137
	v_add_f16_e32 v95, v95, v98
	v_add_f16_e32 v97, v97, v101
	v_mul_f16_e32 v98, 0xba62, v47
	v_mul_f16_e32 v101, 0xba62, v46
	v_add_f16_e32 v134, v134, v138
	v_add_f16_e32 v136, v136, v139
	;; [unrolled: 1-line block ×5, first 2 shown]
	v_fma_f16 v100, v85, s13, -v98
	v_fma_f16 v103, v86, s13, v101
	v_fma_f16 v98, v85, s13, v98
	v_fma_f16 v101, v86, s13, -v101
	v_add_f16_e32 v130, v130, v134
	v_add_f16_e32 v132, v132, v136
	;; [unrolled: 1-line block ×5, first 2 shown]
	v_mul_f16_e32 v102, 0x3b29, v47
	v_mul_f16_e32 v105, 0x3b29, v46
	v_add_f16_e32 v129, v129, v133
	v_add_f16_e32 v126, v126, v130
	;; [unrolled: 1-line block ×6, first 2 shown]
	v_fma_f16 v104, v85, s5, -v102
	v_fma_f16 v107, v86, s5, v105
	v_fma_f16 v102, v85, s5, v102
	v_fma_f16 v105, v86, s5, -v105
	v_add_f16_e32 v125, v125, v129
	v_add_f16_e32 v122, v122, v126
	;; [unrolled: 1-line block ×6, first 2 shown]
	v_mul_f16_e32 v106, 0xbbb2, v47
	v_mul_f16_e32 v109, 0xbbb2, v46
	v_pack_b32_f16 v80, v80, v87
	v_add_f16_e32 v121, v121, v125
	v_add_f16_e32 v118, v118, v122
	;; [unrolled: 1-line block ×6, first 2 shown]
	v_fma_f16 v108, v85, s7, -v106
	v_fma_f16 v111, v86, s7, v109
	v_fma_f16 v106, v85, s7, v106
	v_mul_f16_e32 v47, 0x3bf7, v47
	v_mul_f16_e32 v46, 0x3bf7, v46
	ds_write2_b32 v49, v45, v80 offset1:119
	v_pack_b32_f16 v45, v88, v91
	v_pack_b32_f16 v80, v92, v94
	v_add_f16_e32 v117, v117, v121
	v_add_f16_e32 v114, v114, v118
	v_add_f16_e32 v116, v116, v120
	v_add_f16_e32 v108, v108, v112
	v_add_f16_e32 v111, v111, v115
	v_add_f16_e32 v106, v106, v110
	v_fma_f16 v110, v85, s4, -v47
	v_fma_f16 v112, v86, s4, v46
	v_fma_f16 v47, v85, s4, v47
	v_fma_f16 v46, v86, s4, -v46
	ds_write2_b32 v36, v45, v80 offset0:110 offset1:229
	v_pack_b32_f16 v45, v96, v99
	v_pack_b32_f16 v80, v100, v103
	v_add_f16_e32 v113, v113, v117
	v_fma_f16 v109, v86, s7, -v109
	v_add_f16_e32 v110, v110, v114
	v_add_f16_e32 v112, v112, v116
	;; [unrolled: 1-line block ×4, first 2 shown]
	ds_write2_b32 v39, v45, v80 offset0:92 offset1:211
	v_pack_b32_f16 v45, v104, v107
	v_pack_b32_f16 v80, v108, v111
	v_add_f16_e32 v109, v109, v113
	ds_write2_b32 v40, v45, v80 offset0:74 offset1:193
	v_pack_b32_f16 v45, v110, v112
	v_pack_b32_f16 v46, v47, v46
	ds_write2_b32 v41, v45, v46 offset0:56 offset1:175
	v_pack_b32_f16 v45, v106, v109
	v_pack_b32_f16 v46, v102, v105
	;; [unrolled: 3-line block ×4, first 2 shown]
	ds_write2_b32 v43, v45, v46 offset0:130 offset1:249
	v_pack_b32_f16 v45, v48, v83
	ds_write_b32 v49, v45 offset:7616
	v_add_co_u32_e64 v45, s[0:1], s0, v35
	v_addc_co_u32_e64 v46, s[0:1], 0, v44, s[0:1]
	s_waitcnt lgkmcnt(0)
	s_barrier
	global_load_dword v80, v[45:46], off offset:3996
	s_movk_i32 s0, 0x1f9c
	v_add_co_u32_e64 v45, s[0:1], s0, v35
	v_addc_co_u32_e64 v46, s[0:1], 0, v44, s[0:1]
	global_load_dword v81, v[45:46], off offset:476
	global_load_dword v82, v[45:46], off offset:952
	global_load_dword v83, v[45:46], off offset:1428
	global_load_dword v84, v[45:46], off offset:1904
	global_load_dword v85, v[45:46], off offset:2380
	global_load_dword v86, v[45:46], off offset:2856
	global_load_dword v87, v[45:46], off offset:3332
	global_load_dword v88, v[45:46], off offset:3808
	s_movk_i32 s0, 0x3000
	v_add_co_u32_e64 v45, s[0:1], s0, v35
	v_addc_co_u32_e64 v46, s[0:1], 0, v44, s[0:1]
	global_load_dword v35, v[45:46], off offset:88
	ds_read2_b32 v[47:48], v49 offset1:119
	global_load_dword v89, v[45:46], off offset:564
	global_load_dword v90, v[45:46], off offset:1040
	;; [unrolled: 1-line block ×6, first 2 shown]
	s_movk_i32 s0, 0x3bb2
	s_movk_i32 s1, 0x3b29
	s_waitcnt lgkmcnt(0)
	v_lshrrev_b32_e32 v44, 16, v47
	s_waitcnt vmcnt(15)
	v_mul_f16_sdwa v95, v44, v80 dst_sel:DWORD dst_unused:UNUSED_PAD src0_sel:DWORD src1_sel:WORD_1
	v_fma_f16 v95, v47, v80, -v95
	v_mul_f16_sdwa v47, v47, v80 dst_sel:DWORD dst_unused:UNUSED_PAD src0_sel:DWORD src1_sel:WORD_1
	v_fma_f16 v44, v44, v80, v47
	v_lshrrev_b32_e32 v47, 16, v48
	s_waitcnt vmcnt(14)
	v_mul_f16_sdwa v80, v47, v81 dst_sel:DWORD dst_unused:UNUSED_PAD src0_sel:DWORD src1_sel:WORD_1
	v_fma_f16 v80, v48, v81, -v80
	v_mul_f16_sdwa v48, v48, v81 dst_sel:DWORD dst_unused:UNUSED_PAD src0_sel:DWORD src1_sel:WORD_1
	v_fma_f16 v47, v47, v81, v48
	v_pack_b32_f16 v44, v95, v44
	v_pack_b32_f16 v47, v80, v47
	ds_write2_b32 v49, v44, v47 offset1:119
	ds_read2_b32 v[47:48], v36 offset0:110 offset1:229
	s_waitcnt lgkmcnt(0)
	v_lshrrev_b32_e32 v44, 16, v47
	s_waitcnt vmcnt(13)
	v_mul_f16_sdwa v80, v44, v82 dst_sel:DWORD dst_unused:UNUSED_PAD src0_sel:DWORD src1_sel:WORD_1
	v_fma_f16 v80, v47, v82, -v80
	v_mul_f16_sdwa v47, v47, v82 dst_sel:DWORD dst_unused:UNUSED_PAD src0_sel:DWORD src1_sel:WORD_1
	v_fma_f16 v44, v44, v82, v47
	v_lshrrev_b32_e32 v47, 16, v48
	v_pack_b32_f16 v44, v80, v44
	s_waitcnt vmcnt(12)
	v_mul_f16_sdwa v80, v47, v83 dst_sel:DWORD dst_unused:UNUSED_PAD src0_sel:DWORD src1_sel:WORD_1
	v_fma_f16 v82, v48, v83, -v80
	ds_read2_b32 v[80:81], v39 offset0:92 offset1:211
	v_mul_f16_sdwa v48, v48, v83 dst_sel:DWORD dst_unused:UNUSED_PAD src0_sel:DWORD src1_sel:WORD_1
	v_fma_f16 v47, v47, v83, v48
	v_pack_b32_f16 v47, v82, v47
	ds_write2_b32 v36, v44, v47 offset0:110 offset1:229
	s_waitcnt lgkmcnt(1)
	v_lshrrev_b32_e32 v44, 16, v80
	s_waitcnt vmcnt(11)
	v_mul_f16_sdwa v48, v80, v84 dst_sel:DWORD dst_unused:UNUSED_PAD src0_sel:DWORD src1_sel:WORD_1
	v_mul_f16_sdwa v47, v44, v84 dst_sel:DWORD dst_unused:UNUSED_PAD src0_sel:DWORD src1_sel:WORD_1
	v_fma_f16 v44, v44, v84, v48
	global_load_dword v48, v[45:46], off offset:3420
	v_fma_f16 v47, v80, v84, -v47
	v_lshrrev_b32_e32 v46, 16, v81
	v_pack_b32_f16 v47, v47, v44
	s_waitcnt vmcnt(11)
	v_mul_f16_sdwa v44, v46, v85 dst_sel:DWORD dst_unused:UNUSED_PAD src0_sel:DWORD src1_sel:WORD_1
	v_fma_f16 v80, v81, v85, -v44
	ds_read2_b32 v[44:45], v40 offset0:74 offset1:193
	v_mul_f16_sdwa v81, v81, v85 dst_sel:DWORD dst_unused:UNUSED_PAD src0_sel:DWORD src1_sel:WORD_1
	v_fma_f16 v46, v46, v85, v81
	v_pack_b32_f16 v46, v80, v46
	ds_write2_b32 v39, v47, v46 offset0:92 offset1:211
	s_waitcnt lgkmcnt(1)
	v_lshrrev_b32_e32 v46, 16, v44
	s_waitcnt vmcnt(10)
	v_mul_f16_sdwa v47, v46, v86 dst_sel:DWORD dst_unused:UNUSED_PAD src0_sel:DWORD src1_sel:WORD_1
	v_fma_f16 v47, v44, v86, -v47
	v_mul_f16_sdwa v44, v44, v86 dst_sel:DWORD dst_unused:UNUSED_PAD src0_sel:DWORD src1_sel:WORD_1
	v_lshrrev_b32_e32 v80, 16, v45
	v_fma_f16 v44, v46, v86, v44
	s_waitcnt vmcnt(9)
	v_mul_f16_sdwa v46, v80, v87 dst_sel:DWORD dst_unused:UNUSED_PAD src0_sel:DWORD src1_sel:WORD_1
	v_pack_b32_f16 v44, v47, v44
	v_fma_f16 v81, v45, v87, -v46
	ds_read2_b32 v[46:47], v41 offset0:56 offset1:175
	v_mul_f16_sdwa v45, v45, v87 dst_sel:DWORD dst_unused:UNUSED_PAD src0_sel:DWORD src1_sel:WORD_1
	v_fma_f16 v45, v80, v87, v45
	v_pack_b32_f16 v45, v81, v45
	ds_write2_b32 v40, v44, v45 offset0:74 offset1:193
	s_waitcnt lgkmcnt(1)
	v_lshrrev_b32_e32 v44, 16, v46
	s_waitcnt vmcnt(8)
	v_mul_f16_sdwa v45, v44, v88 dst_sel:DWORD dst_unused:UNUSED_PAD src0_sel:DWORD src1_sel:WORD_1
	v_fma_f16 v45, v46, v88, -v45
	v_mul_f16_sdwa v46, v46, v88 dst_sel:DWORD dst_unused:UNUSED_PAD src0_sel:DWORD src1_sel:WORD_1
	v_fma_f16 v44, v44, v88, v46
	v_lshrrev_b32_e32 v80, 16, v47
	v_pack_b32_f16 v46, v45, v44
	s_waitcnt vmcnt(7)
	v_mul_f16_sdwa v44, v80, v35 dst_sel:DWORD dst_unused:UNUSED_PAD src0_sel:DWORD src1_sel:WORD_1
	v_fma_f16 v81, v47, v35, -v44
	ds_read2_b32 v[44:45], v42 offset0:38 offset1:157
	v_mul_f16_sdwa v47, v47, v35 dst_sel:DWORD dst_unused:UNUSED_PAD src0_sel:DWORD src1_sel:WORD_1
	v_fma_f16 v35, v80, v35, v47
	v_pack_b32_f16 v35, v81, v35
	ds_write2_b32 v41, v46, v35 offset0:56 offset1:175
	s_waitcnt lgkmcnt(1)
	v_lshrrev_b32_e32 v35, 16, v44
	s_waitcnt vmcnt(6)
	v_mul_f16_sdwa v46, v35, v89 dst_sel:DWORD dst_unused:UNUSED_PAD src0_sel:DWORD src1_sel:WORD_1
	v_fma_f16 v46, v44, v89, -v46
	v_mul_f16_sdwa v44, v44, v89 dst_sel:DWORD dst_unused:UNUSED_PAD src0_sel:DWORD src1_sel:WORD_1
	v_fma_f16 v35, v35, v89, v44
	v_lshrrev_b32_e32 v44, 16, v45
	v_pack_b32_f16 v35, v46, v35
	s_waitcnt vmcnt(5)
	v_mul_f16_sdwa v46, v44, v90 dst_sel:DWORD dst_unused:UNUSED_PAD src0_sel:DWORD src1_sel:WORD_1
	v_fma_f16 v80, v45, v90, -v46
	ds_read2_b32 v[46:47], v38 offset0:20 offset1:139
	v_mul_f16_sdwa v45, v45, v90 dst_sel:DWORD dst_unused:UNUSED_PAD src0_sel:DWORD src1_sel:WORD_1
	v_fma_f16 v44, v44, v90, v45
	v_pack_b32_f16 v44, v80, v44
	ds_write2_b32 v42, v35, v44 offset0:38 offset1:157
	s_waitcnt lgkmcnt(1)
	v_lshrrev_b32_e32 v35, 16, v46
	s_waitcnt vmcnt(4)
	v_mul_f16_sdwa v44, v35, v91 dst_sel:DWORD dst_unused:UNUSED_PAD src0_sel:DWORD src1_sel:WORD_1
	v_mul_f16_sdwa v45, v46, v91 dst_sel:DWORD dst_unused:UNUSED_PAD src0_sel:DWORD src1_sel:WORD_1
	v_fma_f16 v44, v46, v91, -v44
	v_fma_f16 v35, v35, v91, v45
	v_lshrrev_b32_e32 v46, 16, v47
	v_pack_b32_f16 v35, v44, v35
	s_waitcnt vmcnt(3)
	v_mul_f16_sdwa v44, v46, v92 dst_sel:DWORD dst_unused:UNUSED_PAD src0_sel:DWORD src1_sel:WORD_1
	v_fma_f16 v80, v47, v92, -v44
	ds_read2_b32 v[44:45], v43 offset0:130 offset1:249
	v_mul_f16_sdwa v47, v47, v92 dst_sel:DWORD dst_unused:UNUSED_PAD src0_sel:DWORD src1_sel:WORD_1
	v_fma_f16 v46, v46, v92, v47
	v_pack_b32_f16 v46, v80, v46
	ds_write2_b32 v38, v35, v46 offset0:20 offset1:139
	s_waitcnt lgkmcnt(1)
	v_lshrrev_b32_e32 v35, 16, v44
	s_waitcnt vmcnt(2)
	v_mul_f16_sdwa v46, v35, v93 dst_sel:DWORD dst_unused:UNUSED_PAD src0_sel:DWORD src1_sel:WORD_1
	v_fma_f16 v46, v44, v93, -v46
	v_mul_f16_sdwa v44, v44, v93 dst_sel:DWORD dst_unused:UNUSED_PAD src0_sel:DWORD src1_sel:WORD_1
	v_fma_f16 v35, v35, v93, v44
	v_lshrrev_b32_e32 v44, 16, v45
	ds_read_b32 v47, v49 offset:7616
	v_pack_b32_f16 v35, v46, v35
	s_waitcnt vmcnt(1)
	v_mul_f16_sdwa v46, v44, v94 dst_sel:DWORD dst_unused:UNUSED_PAD src0_sel:DWORD src1_sel:WORD_1
	v_fma_f16 v46, v45, v94, -v46
	v_mul_f16_sdwa v45, v45, v94 dst_sel:DWORD dst_unused:UNUSED_PAD src0_sel:DWORD src1_sel:WORD_1
	v_fma_f16 v44, v44, v94, v45
	v_pack_b32_f16 v44, v46, v44
	ds_write2_b32 v43, v35, v44 offset0:130 offset1:249
	s_waitcnt lgkmcnt(1)
	v_lshrrev_b32_e32 v35, 16, v47
	s_waitcnt vmcnt(0)
	v_mul_f16_sdwa v44, v35, v48 dst_sel:DWORD dst_unused:UNUSED_PAD src0_sel:DWORD src1_sel:WORD_1
	v_mul_f16_sdwa v45, v47, v48 dst_sel:DWORD dst_unused:UNUSED_PAD src0_sel:DWORD src1_sel:WORD_1
	v_fma_f16 v44, v47, v48, -v44
	v_fma_f16 v35, v35, v48, v45
	v_pack_b32_f16 v35, v44, v35
	ds_write_b32 v49, v35 offset:7616
	s_waitcnt lgkmcnt(0)
	s_barrier
	ds_read2_b32 v[44:45], v49 offset1:119
	ds_read_b32 v48, v49 offset:7616
	ds_read2_b32 v[46:47], v36 offset0:110 offset1:229
	ds_read2_b32 v[80:81], v39 offset0:92 offset1:211
	;; [unrolled: 1-line block ×7, first 2 shown]
	s_waitcnt lgkmcnt(8)
	v_pk_add_f16 v39, v45, v44
	s_waitcnt lgkmcnt(6)
	v_pk_add_f16 v39, v39, v46
	v_pk_add_f16 v39, v39, v47
	s_waitcnt lgkmcnt(5)
	v_pk_add_f16 v39, v39, v80
	;; [unrolled: 3-line block ×7, first 2 shown]
	v_pk_add_f16 v86, v48, v45
	v_pk_add_f16 v39, v39, v43
	v_pk_add_f16 v45, v45, v48 neg_lo:[0,1] neg_hi:[0,1]
	v_mul_f16_sdwa v88, v86, s12 dst_sel:DWORD dst_unused:UNUSED_PAD src0_sel:WORD_1 src1_sel:DWORD
	v_mul_f16_sdwa v92, v86, s6 dst_sel:DWORD dst_unused:UNUSED_PAD src0_sel:WORD_1 src1_sel:DWORD
	;; [unrolled: 1-line block ×7, first 2 shown]
	v_pk_add_f16 v39, v39, v48
	v_mul_f16_sdwa v48, v45, s21 dst_sel:DWORD dst_unused:UNUSED_PAD src0_sel:WORD_1 src1_sel:DWORD
	v_fma_f16 v89, v45, s24, v88
	v_fma_f16 v88, v45, s21, v88
	v_mul_f16_sdwa v90, v45, s19 dst_sel:DWORD dst_unused:UNUSED_PAD src0_sel:WORD_1 src1_sel:DWORD
	v_fma_f16 v93, v45, s28, v92
	v_fma_f16 v92, v45, s19, v92
	;; [unrolled: 3-line block ×7, first 2 shown]
	v_pk_mul_f16 v45, v45, s22 op_sel_hi:[1,0]
	v_fma_f16 v87, v86, s12, v48
	v_fma_f16 v48, v86, s12, -v48
	v_fma_f16 v91, v86, s6, v90
	v_fma_f16 v90, v86, s6, -v90
	;; [unrolled: 2-line block ×7, first 2 shown]
	v_pk_fma_f16 v114, v86, s15, v45 op_sel:[0,0,1] op_sel_hi:[1,0,0]
	v_pk_fma_f16 v45, v86, s15, v45 op_sel:[0,0,1] op_sel_hi:[1,0,0] neg_lo:[0,0,1] neg_hi:[0,0,1]
	v_add_f16_e32 v87, v87, v44
	v_add_f16_sdwa v89, v89, v44 dst_sel:DWORD dst_unused:UNUSED_PAD src0_sel:DWORD src1_sel:WORD_1
	v_add_f16_e32 v48, v48, v44
	v_add_f16_sdwa v88, v88, v44 dst_sel:DWORD dst_unused:UNUSED_PAD src0_sel:DWORD src1_sel:WORD_1
	;; [unrolled: 2-line block ×14, first 2 shown]
	v_pk_add_f16 v114, v114, v44
	v_pk_add_f16 v44, v45, v44
	;; [unrolled: 1-line block ×3, first 2 shown]
	v_pk_add_f16 v43, v46, v43 neg_lo:[0,1] neg_hi:[0,1]
	v_mul_f16_sdwa v46, v43, s19 dst_sel:DWORD dst_unused:UNUSED_PAD src0_sel:WORD_1 src1_sel:DWORD
	v_fma_f16 v86, v45, s6, v46
	v_add_f16_e32 v86, v86, v87
	v_mul_f16_sdwa v87, v45, s6 dst_sel:DWORD dst_unused:UNUSED_PAD src0_sel:WORD_1 src1_sel:DWORD
	v_fma_f16 v46, v45, s6, -v46
	v_fma_f16 v115, v43, s28, v87
	v_add_f16_e32 v46, v46, v48
	v_fma_f16 v48, v43, s19, v87
	v_mul_f16_sdwa v87, v43, s26 dst_sel:DWORD dst_unused:UNUSED_PAD src0_sel:WORD_1 src1_sel:DWORD
	v_add_f16_e32 v48, v48, v88
	v_fma_f16 v88, v45, s4, v87
	v_add_f16_e32 v88, v88, v91
	v_mul_f16_sdwa v91, v45, s4 dst_sel:DWORD dst_unused:UNUSED_PAD src0_sel:WORD_1 src1_sel:DWORD
	v_fma_f16 v87, v45, s4, -v87
	v_add_f16_e32 v89, v115, v89
	v_fma_f16 v115, v43, s25, v91
	v_add_f16_e32 v87, v87, v90
	v_fma_f16 v90, v43, s26, v91
	v_mul_f16_sdwa v91, v43, s18 dst_sel:DWORD dst_unused:UNUSED_PAD src0_sel:WORD_1 src1_sel:DWORD
	v_add_f16_e32 v90, v90, v92
	v_fma_f16 v92, v45, s13, v91
	v_add_f16_e32 v92, v92, v95
	v_mul_f16_sdwa v95, v45, s13 dst_sel:DWORD dst_unused:UNUSED_PAD src0_sel:WORD_1 src1_sel:DWORD
	v_fma_f16 v91, v45, s13, -v91
	v_add_f16_e32 v93, v115, v93
	;; [unrolled: 10-line block ×6, first 2 shown]
	v_fma_f16 v115, v43, s17, v111
	v_add_f16_e32 v107, v107, v110
	v_fma_f16 v110, v43, s1, v111
	v_pk_mul_f16 v43, v43, s24 op_sel_hi:[1,0]
	v_pk_fma_f16 v111, v45, s12, v43 op_sel:[0,0,1] op_sel_hi:[1,0,0]
	v_pk_fma_f16 v43, v45, s12, v43 op_sel:[0,0,1] op_sel_hi:[1,0,0] neg_lo:[0,0,1] neg_hi:[0,0,1]
	v_pk_add_f16 v43, v43, v44
	v_pk_add_f16 v44, v42, v47
	v_pk_add_f16 v42, v47, v42 neg_lo:[0,1] neg_hi:[0,1]
	v_mul_f16_sdwa v45, v42, s17 dst_sel:DWORD dst_unused:UNUSED_PAD src0_sel:WORD_1 src1_sel:DWORD
	v_fma_f16 v47, v44, s5, v45
	v_add_f16_e32 v47, v47, v86
	v_mul_f16_sdwa v86, v44, s5 dst_sel:DWORD dst_unused:UNUSED_PAD src0_sel:WORD_1 src1_sel:DWORD
	v_fma_f16 v45, v44, s5, -v45
	v_add_f16_e32 v45, v45, v46
	v_fma_f16 v46, v42, s17, v86
	v_add_f16_e32 v46, v46, v48
	v_mul_f16_sdwa v48, v42, s18 dst_sel:DWORD dst_unused:UNUSED_PAD src0_sel:WORD_1 src1_sel:DWORD
	v_add_f16_e32 v110, v110, v112
	v_fma_f16 v112, v42, s1, v86
	v_fma_f16 v86, v44, s13, v48
	v_add_f16_e32 v86, v86, v88
	v_mul_f16_sdwa v88, v44, s13 dst_sel:DWORD dst_unused:UNUSED_PAD src0_sel:WORD_1 src1_sel:DWORD
	v_fma_f16 v48, v44, s13, -v48
	v_add_f16_e32 v89, v112, v89
	v_fma_f16 v112, v42, s27, v88
	v_add_f16_e32 v48, v48, v87
	v_fma_f16 v87, v42, s18, v88
	v_mul_f16_sdwa v88, v42, s29 dst_sel:DWORD dst_unused:UNUSED_PAD src0_sel:WORD_1 src1_sel:DWORD
	v_add_f16_e32 v87, v87, v90
	v_fma_f16 v90, v44, s15, v88
	v_add_f16_e32 v90, v90, v92
	v_mul_f16_sdwa v92, v44, s15 dst_sel:DWORD dst_unused:UNUSED_PAD src0_sel:WORD_1 src1_sel:DWORD
	v_fma_f16 v88, v44, s15, -v88
	v_add_f16_e32 v93, v112, v93
	v_fma_f16 v112, v42, s22, v92
	v_add_f16_e32 v88, v88, v91
	v_fma_f16 v91, v42, s29, v92
	v_mul_f16_sdwa v92, v42, s0 dst_sel:DWORD dst_unused:UNUSED_PAD src0_sel:WORD_1 src1_sel:DWORD
	v_add_f16_e32 v91, v91, v94
	;; [unrolled: 10-line block ×5, first 2 shown]
	v_fma_f16 v106, v44, s4, v104
	v_add_f16_e32 v106, v106, v108
	v_mul_f16_sdwa v108, v44, s4 dst_sel:DWORD dst_unused:UNUSED_PAD src0_sel:WORD_1 src1_sel:DWORD
	v_fma_f16 v104, v44, s4, -v104
	v_add_f16_e32 v109, v112, v109
	v_fma_f16 v112, v42, s25, v108
	v_add_f16_e32 v104, v104, v107
	v_fma_f16 v107, v42, s26, v108
	v_pk_mul_f16 v42, v42, s20 op_sel_hi:[1,0]
	v_pk_fma_f16 v108, v44, s14, v42 op_sel:[0,0,1] op_sel_hi:[1,0,0]
	v_pk_fma_f16 v42, v44, s14, v42 op_sel:[0,0,1] op_sel_hi:[1,0,0] neg_lo:[0,0,1] neg_hi:[0,0,1]
	v_pk_add_f16 v44, v80, v85 neg_lo:[0,1] neg_hi:[0,1]
	v_pk_add_f16 v42, v42, v43
	v_pk_add_f16 v43, v85, v80
	v_mul_f16_sdwa v80, v44, s26 dst_sel:DWORD dst_unused:UNUSED_PAD src0_sel:WORD_1 src1_sel:DWORD
	v_fma_f16 v85, v43, s4, v80
	v_add_f16_e32 v47, v85, v47
	v_mul_f16_sdwa v85, v43, s4 dst_sel:DWORD dst_unused:UNUSED_PAD src0_sel:WORD_1 src1_sel:DWORD
	v_fma_f16 v80, v43, s4, -v80
	v_add_f16_e32 v45, v80, v45
	v_fma_f16 v80, v44, s26, v85
	v_add_f16_e32 v46, v80, v46
	v_mul_f16_sdwa v80, v44, s22 dst_sel:DWORD dst_unused:UNUSED_PAD src0_sel:WORD_1 src1_sel:DWORD
	v_add_f16_e32 v107, v107, v110
	v_fma_f16 v110, v44, s25, v85
	v_fma_f16 v85, v43, s15, v80
	v_add_f16_e32 v85, v85, v86
	v_mul_f16_sdwa v86, v43, s15 dst_sel:DWORD dst_unused:UNUSED_PAD src0_sel:WORD_1 src1_sel:DWORD
	v_fma_f16 v80, v43, s15, -v80
	v_add_f16_e32 v89, v110, v89
	v_fma_f16 v110, v44, s29, v86
	v_add_f16_e32 v48, v80, v48
	v_fma_f16 v80, v44, s22, v86
	v_mul_f16_sdwa v86, v44, s0 dst_sel:DWORD dst_unused:UNUSED_PAD src0_sel:WORD_1 src1_sel:DWORD
	v_add_f16_e32 v80, v80, v87
	v_fma_f16 v87, v43, s7, v86
	v_add_f16_e32 v87, v87, v90
	v_mul_f16_sdwa v90, v43, s7 dst_sel:DWORD dst_unused:UNUSED_PAD src0_sel:WORD_1 src1_sel:DWORD
	v_fma_f16 v86, v43, s7, -v86
	v_add_f16_e32 v93, v110, v93
	v_fma_f16 v110, v44, s16, v90
	v_add_f16_e32 v86, v86, v88
	v_fma_f16 v88, v44, s0, v90
	v_mul_f16_sdwa v90, v44, s24 dst_sel:DWORD dst_unused:UNUSED_PAD src0_sel:WORD_1 src1_sel:DWORD
	v_add_f16_e32 v88, v88, v91
	;; [unrolled: 10-line block ×5, first 2 shown]
	v_fma_f16 v103, v43, s13, v102
	v_add_f16_e32 v103, v103, v106
	v_mul_f16_sdwa v106, v43, s13 dst_sel:DWORD dst_unused:UNUSED_PAD src0_sel:WORD_1 src1_sel:DWORD
	v_fma_f16 v102, v43, s13, -v102
	v_add_f16_e32 v109, v110, v109
	v_fma_f16 v110, v44, s18, v106
	v_add_f16_e32 v102, v102, v104
	v_fma_f16 v104, v44, s27, v106
	v_pk_mul_f16 v44, v44, s28 op_sel_hi:[1,0]
	v_pk_fma_f16 v106, v43, s6, v44 op_sel:[0,0,1] op_sel_hi:[1,0,0]
	v_pk_fma_f16 v43, v43, s6, v44 op_sel:[0,0,1] op_sel_hi:[1,0,0] neg_lo:[0,0,1] neg_hi:[0,0,1]
	v_pk_add_f16 v44, v81, v84 neg_lo:[0,1] neg_hi:[0,1]
	v_pk_add_f16 v42, v43, v42
	v_pk_add_f16 v43, v84, v81
	v_mul_f16_sdwa v81, v44, s16 dst_sel:DWORD dst_unused:UNUSED_PAD src0_sel:WORD_1 src1_sel:DWORD
	v_fma_f16 v84, v43, s7, v81
	v_add_f16_e32 v47, v84, v47
	v_mul_f16_sdwa v84, v43, s7 dst_sel:DWORD dst_unused:UNUSED_PAD src0_sel:WORD_1 src1_sel:DWORD
	v_fma_f16 v81, v43, s7, -v81
	v_add_f16_e32 v45, v81, v45
	v_fma_f16 v81, v44, s16, v84
	v_add_f16_e32 v46, v81, v46
	v_mul_f16_sdwa v81, v44, s23 dst_sel:DWORD dst_unused:UNUSED_PAD src0_sel:WORD_1 src1_sel:DWORD
	v_add_f16_e32 v104, v104, v107
	v_fma_f16 v107, v44, s0, v84
	v_fma_f16 v84, v43, s14, v81
	v_add_f16_e32 v84, v84, v85
	v_mul_f16_sdwa v85, v43, s14 dst_sel:DWORD dst_unused:UNUSED_PAD src0_sel:WORD_1 src1_sel:DWORD
	v_fma_f16 v81, v43, s14, -v81
	v_add_f16_e32 v48, v81, v48
	v_fma_f16 v81, v44, s23, v85
	v_add_f16_e32 v80, v81, v80
	v_mul_f16_sdwa v81, v44, s28 dst_sel:DWORD dst_unused:UNUSED_PAD src0_sel:WORD_1 src1_sel:DWORD
	v_add_f16_e32 v89, v107, v89
	v_fma_f16 v107, v44, s20, v85
	v_fma_f16 v85, v43, s6, v81
	v_add_f16_e32 v85, v85, v87
	v_mul_f16_sdwa v87, v43, s6 dst_sel:DWORD dst_unused:UNUSED_PAD src0_sel:WORD_1 src1_sel:DWORD
	v_fma_f16 v81, v43, s6, -v81
	v_add_f16_e32 v93, v107, v93
	v_fma_f16 v107, v44, s19, v87
	v_add_f16_e32 v81, v81, v86
	v_fma_f16 v86, v44, s28, v87
	v_mul_f16_sdwa v87, v44, s17 dst_sel:DWORD dst_unused:UNUSED_PAD src0_sel:WORD_1 src1_sel:DWORD
	v_add_f16_e32 v86, v86, v88
	v_fma_f16 v88, v43, s5, v87
	v_add_f16_e32 v88, v88, v91
	v_mul_f16_sdwa v91, v43, s5 dst_sel:DWORD dst_unused:UNUSED_PAD src0_sel:WORD_1 src1_sel:DWORD
	v_fma_f16 v87, v43, s5, -v87
	v_add_f16_e32 v97, v107, v97
	v_fma_f16 v107, v44, s1, v91
	v_add_f16_e32 v87, v87, v90
	v_fma_f16 v90, v44, s17, v91
	v_mul_f16_sdwa v91, v44, s22 dst_sel:DWORD dst_unused:UNUSED_PAD src0_sel:WORD_1 src1_sel:DWORD
	v_add_f16_e32 v90, v90, v92
	;; [unrolled: 10-line block ×3, first 2 shown]
	v_fma_f16 v96, v43, s4, v95
	v_add_f16_e32 v96, v96, v99
	v_mul_f16_sdwa v99, v43, s4 dst_sel:DWORD dst_unused:UNUSED_PAD src0_sel:WORD_1 src1_sel:DWORD
	v_fma_f16 v95, v43, s4, -v95
	v_add_f16_e32 v105, v107, v105
	v_fma_f16 v107, v44, s26, v99
	v_add_f16_e32 v95, v95, v98
	v_fma_f16 v98, v44, s25, v99
	v_mul_f16_sdwa v99, v44, s21 dst_sel:DWORD dst_unused:UNUSED_PAD src0_sel:WORD_1 src1_sel:DWORD
	v_pk_add_f16 v111, v111, v114
	v_add_f16_e32 v98, v98, v100
	v_fma_f16 v100, v43, s12, v99
	v_pk_add_f16 v108, v108, v111
	v_add_f16_e32 v100, v100, v103
	v_mul_f16_sdwa v103, v43, s12 dst_sel:DWORD dst_unused:UNUSED_PAD src0_sel:WORD_1 src1_sel:DWORD
	v_fma_f16 v99, v43, s12, -v99
	v_pk_add_f16 v106, v106, v108
	v_fma_f16 v108, v44, s24, v103
	v_add_f16_e32 v99, v99, v102
	v_fma_f16 v102, v44, s21, v103
	v_pk_mul_f16 v44, v44, s18 op_sel_hi:[1,0]
	v_pk_fma_f16 v103, v43, s13, v44 op_sel:[0,0,1] op_sel_hi:[1,0,0]
	v_pk_fma_f16 v43, v43, s13, v44 op_sel:[0,0,1] op_sel_hi:[1,0,0] neg_lo:[0,0,1] neg_hi:[0,0,1]
	v_pk_add_f16 v42, v43, v42
	v_pk_add_f16 v43, v41, v82
	v_pk_add_f16 v41, v82, v41 neg_lo:[0,1] neg_hi:[0,1]
	v_mul_f16_sdwa v44, v41, s18 dst_sel:DWORD dst_unused:UNUSED_PAD src0_sel:WORD_1 src1_sel:DWORD
	v_fma_f16 v82, v43, s13, v44
	v_add_f16_e32 v47, v82, v47
	v_mul_f16_sdwa v82, v43, s13 dst_sel:DWORD dst_unused:UNUSED_PAD src0_sel:WORD_1 src1_sel:DWORD
	v_fma_f16 v44, v43, s13, -v44
	v_add_f16_e32 v44, v44, v45
	v_fma_f16 v45, v41, s18, v82
	v_add_f16_e32 v45, v45, v46
	v_mul_f16_sdwa v46, v41, s0 dst_sel:DWORD dst_unused:UNUSED_PAD src0_sel:WORD_1 src1_sel:DWORD
	v_add_f16_e32 v102, v102, v104
	v_fma_f16 v104, v41, s27, v82
	v_fma_f16 v82, v43, s7, v46
	v_add_f16_e32 v82, v82, v84
	v_mul_f16_sdwa v84, v43, s7 dst_sel:DWORD dst_unused:UNUSED_PAD src0_sel:WORD_1 src1_sel:DWORD
	v_fma_f16 v46, v43, s7, -v46
	v_add_f16_e32 v46, v46, v48
	v_fma_f16 v48, v41, s0, v84
	v_add_f16_e32 v48, v48, v80
	v_mul_f16_sdwa v80, v41, s21 dst_sel:DWORD dst_unused:UNUSED_PAD src0_sel:WORD_1 src1_sel:DWORD
	v_add_f16_e32 v89, v104, v89
	v_fma_f16 v104, v41, s16, v84
	v_fma_f16 v84, v43, s12, v80
	v_add_f16_e32 v84, v84, v85
	v_mul_f16_sdwa v85, v43, s12 dst_sel:DWORD dst_unused:UNUSED_PAD src0_sel:WORD_1 src1_sel:DWORD
	v_fma_f16 v80, v43, s12, -v80
	v_add_f16_e32 v93, v104, v93
	v_fma_f16 v104, v41, s24, v85
	v_add_f16_e32 v80, v80, v81
	v_fma_f16 v81, v41, s21, v85
	v_mul_f16_sdwa v85, v41, s20 dst_sel:DWORD dst_unused:UNUSED_PAD src0_sel:WORD_1 src1_sel:DWORD
	v_add_f16_e32 v81, v81, v86
	v_fma_f16 v86, v43, s14, v85
	v_add_f16_e32 v86, v86, v88
	v_mul_f16_sdwa v88, v43, s14 dst_sel:DWORD dst_unused:UNUSED_PAD src0_sel:WORD_1 src1_sel:DWORD
	v_fma_f16 v85, v43, s14, -v85
	v_add_f16_e32 v97, v104, v97
	v_fma_f16 v104, v41, s23, v88
	v_add_f16_e32 v85, v85, v87
	v_fma_f16 v87, v41, s20, v88
	v_mul_f16_sdwa v88, v41, s25 dst_sel:DWORD dst_unused:UNUSED_PAD src0_sel:WORD_1 src1_sel:DWORD
	v_add_f16_e32 v87, v87, v90
	;; [unrolled: 10-line block ×4, first 2 shown]
	v_fma_f16 v98, v43, s15, v96
	v_add_f16_e32 v98, v98, v100
	v_mul_f16_sdwa v100, v43, s15 dst_sel:DWORD dst_unused:UNUSED_PAD src0_sel:WORD_1 src1_sel:DWORD
	v_fma_f16 v96, v43, s15, -v96
	v_pk_add_f16 v103, v103, v106
	v_fma_f16 v106, v41, s29, v100
	v_add_f16_e32 v96, v96, v99
	v_fma_f16 v99, v41, s22, v100
	v_pk_mul_f16 v41, v41, s1 op_sel_hi:[1,0]
	v_pk_fma_f16 v100, v43, s5, v41 op_sel:[0,0,1] op_sel_hi:[1,0,0]
	v_pk_fma_f16 v41, v43, s5, v41 op_sel:[0,0,1] op_sel_hi:[1,0,0] neg_lo:[0,0,1] neg_hi:[0,0,1]
	v_pk_add_f16 v41, v41, v42
	v_pk_add_f16 v42, v40, v83
	v_pk_add_f16 v40, v83, v40 neg_lo:[0,1] neg_hi:[0,1]
	v_mul_f16_sdwa v43, v40, s20 dst_sel:DWORD dst_unused:UNUSED_PAD src0_sel:WORD_1 src1_sel:DWORD
	v_fma_f16 v83, v42, s14, v43
	v_add_f16_e32 v47, v83, v47
	v_mul_f16_sdwa v83, v42, s14 dst_sel:DWORD dst_unused:UNUSED_PAD src0_sel:WORD_1 src1_sel:DWORD
	v_fma_f16 v43, v42, s14, -v43
	v_add_f16_e32 v43, v43, v44
	v_fma_f16 v44, v40, s20, v83
	v_add_f16_e32 v44, v44, v45
	v_mul_f16_sdwa v45, v40, s1 dst_sel:DWORD dst_unused:UNUSED_PAD src0_sel:WORD_1 src1_sel:DWORD
	v_add_f16_e32 v99, v99, v102
	v_fma_f16 v102, v40, s23, v83
	v_fma_f16 v83, v42, s5, v45
	v_add_f16_e32 v82, v83, v82
	v_mul_f16_sdwa v83, v42, s5 dst_sel:DWORD dst_unused:UNUSED_PAD src0_sel:WORD_1 src1_sel:DWORD
	v_fma_f16 v45, v42, s5, -v45
	v_add_f16_e32 v45, v45, v46
	v_fma_f16 v46, v40, s1, v83
	v_add_f16_e32 v46, v46, v48
	v_mul_f16_sdwa v48, v40, s26 dst_sel:DWORD dst_unused:UNUSED_PAD src0_sel:WORD_1 src1_sel:DWORD
	v_add_f16_e32 v89, v102, v89
	v_fma_f16 v102, v40, s17, v83
	v_fma_f16 v83, v42, s4, v48
	v_add_f16_e32 v84, v83, v84
	v_mul_f16_sdwa v83, v42, s4 dst_sel:DWORD dst_unused:UNUSED_PAD src0_sel:WORD_1 src1_sel:DWORD
	v_fma_f16 v48, v42, s4, -v48
	v_add_f16_e32 v93, v102, v93
	v_fma_f16 v102, v40, s25, v83
	v_add_f16_e32 v48, v48, v80
	v_fma_f16 v80, v40, s26, v83
	v_add_f16_e32 v97, v102, v97
	v_add_f16_e32 v102, v80, v81
	v_mul_f16_sdwa v80, v40, s27 dst_sel:DWORD dst_unused:UNUSED_PAD src0_sel:WORD_1 src1_sel:DWORD
	v_fma_f16 v81, v42, s13, v80
	v_add_f16_e32 v86, v81, v86
	v_mul_f16_sdwa v81, v42, s13 dst_sel:DWORD dst_unused:UNUSED_PAD src0_sel:WORD_1 src1_sel:DWORD
	v_fma_f16 v80, v42, s13, -v80
	v_pk_add_f16 v100, v100, v103
	v_add_f16_e32 v103, v80, v85
	v_fma_f16 v80, v40, s27, v81
	v_add_f16_e32 v87, v80, v87
	v_mul_f16_sdwa v80, v40, s21 dst_sel:DWORD dst_unused:UNUSED_PAD src0_sel:WORD_1 src1_sel:DWORD
	v_fma_f16 v83, v40, s18, v81
	v_fma_f16 v81, v42, s12, v80
	v_add_f16_e32 v90, v81, v90
	v_mul_f16_sdwa v81, v42, s12 dst_sel:DWORD dst_unused:UNUSED_PAD src0_sel:WORD_1 src1_sel:DWORD
	v_fma_f16 v80, v42, s12, -v80
	v_add_f16_e32 v88, v80, v88
	v_fma_f16 v80, v40, s21, v81
	v_add_f16_e32 v91, v80, v91
	v_mul_f16_sdwa v80, v40, s22 dst_sel:DWORD dst_unused:UNUSED_PAD src0_sel:WORD_1 src1_sel:DWORD
	v_add_f16_e32 v101, v83, v101
	v_fma_f16 v83, v40, s24, v81
	v_fma_f16 v81, v42, s15, v80
	v_add_f16_e32 v94, v81, v94
	v_mul_f16_sdwa v81, v42, s15 dst_sel:DWORD dst_unused:UNUSED_PAD src0_sel:WORD_1 src1_sel:DWORD
	v_fma_f16 v80, v42, s15, -v80
	v_add_f16_e32 v92, v80, v92
	v_fma_f16 v80, v40, s22, v81
	v_add_f16_e32 v95, v80, v95
	v_mul_f16_sdwa v80, v40, s28 dst_sel:DWORD dst_unused:UNUSED_PAD src0_sel:WORD_1 src1_sel:DWORD
	v_add_f16_e32 v107, v107, v109
	v_add_f16_e32 v104, v83, v104
	v_fma_f16 v83, v40, s29, v81
	v_fma_f16 v81, v42, s6, v80
	v_add_f16_e32 v105, v105, v107
	v_add_f16_e32 v98, v81, v98
	v_mul_f16_sdwa v81, v42, s6 dst_sel:DWORD dst_unused:UNUSED_PAD src0_sel:WORD_1 src1_sel:DWORD
	v_fma_f16 v80, v42, s6, -v80
	v_add_f16_e32 v105, v83, v105
	v_fma_f16 v83, v40, s19, v81
	v_add_f16_e32 v96, v80, v96
	v_fma_f16 v80, v40, s28, v81
	v_pk_mul_f16 v40, v40, s16 op_sel_hi:[1,0]
	v_add_f16_e32 v99, v80, v99
	v_pk_fma_f16 v80, v42, s7, v40 op_sel:[0,0,1] op_sel_hi:[1,0,0]
	v_pk_fma_f16 v40, v42, s7, v40 op_sel:[0,0,1] op_sel_hi:[1,0,0] neg_lo:[0,0,1] neg_hi:[0,0,1]
	v_add_f16_e32 v113, v115, v113
	v_pk_add_f16 v40, v40, v41
	v_pk_add_f16 v41, v36, v35
	v_pk_add_f16 v35, v35, v36 neg_lo:[0,1] neg_hi:[0,1]
	v_add_f16_e32 v112, v112, v113
	v_mul_f16_sdwa v36, v35, s22 dst_sel:DWORD dst_unused:UNUSED_PAD src0_sel:WORD_1 src1_sel:DWORD
	v_add_f16_e32 v110, v110, v112
	v_fma_f16 v42, v41, s15, v36
	v_add_f16_e32 v108, v108, v110
	v_add_f16_e32 v42, v42, v47
	v_mul_f16_sdwa v47, v41, s15 dst_sel:DWORD dst_unused:UNUSED_PAD src0_sel:WORD_1 src1_sel:DWORD
	v_fma_f16 v36, v41, s15, -v36
	v_add_f16_e32 v106, v106, v108
	v_add_f16_e32 v81, v36, v43
	v_fma_f16 v36, v35, s22, v47
	v_add_f16_e32 v106, v83, v106
	v_add_f16_e32 v83, v36, v44
	v_mul_f16_sdwa v36, v35, s24 dst_sel:DWORD dst_unused:UNUSED_PAD src0_sel:WORD_1 src1_sel:DWORD
	v_fma_f16 v43, v41, s12, v36
	v_mul_f16_sdwa v44, v41, s12 dst_sel:DWORD dst_unused:UNUSED_PAD src0_sel:WORD_1 src1_sel:DWORD
	v_fma_f16 v36, v41, s12, -v36
	v_add_f16_e32 v43, v43, v82
	v_add_f16_e32 v82, v36, v45
	v_fma_f16 v36, v35, s24, v44
	v_add_f16_e32 v85, v36, v46
	v_mul_f16_sdwa v36, v35, s20 dst_sel:DWORD dst_unused:UNUSED_PAD src0_sel:WORD_1 src1_sel:DWORD
	v_pk_add_f16 v100, v80, v100
	v_fma_f16 v80, v35, s29, v47
	v_fma_f16 v47, v35, s21, v44
	v_fma_f16 v44, v41, s14, v36
	v_mul_f16_sdwa v45, v41, s14 dst_sel:DWORD dst_unused:UNUSED_PAD src0_sel:WORD_1 src1_sel:DWORD
	v_fma_f16 v36, v41, s14, -v36
	v_add_f16_e32 v89, v80, v89
	v_add_f16_e32 v80, v36, v48
	v_fma_f16 v36, v35, s20, v45
	v_add_f16_e32 v44, v44, v84
	v_add_f16_e32 v84, v36, v102
	v_mul_f16_sdwa v36, v35, s28 dst_sel:DWORD dst_unused:UNUSED_PAD src0_sel:WORD_1 src1_sel:DWORD
	v_fma_f16 v46, v35, s23, v45
	v_fma_f16 v45, v41, s6, v36
	v_mul_f16_sdwa v48, v41, s6 dst_sel:DWORD dst_unused:UNUSED_PAD src0_sel:WORD_1 src1_sel:DWORD
	v_add_f16_e32 v45, v45, v86
	v_fma_f16 v86, v35, s19, v48
	v_fma_f16 v48, v35, s28, v48
	v_add_f16_e32 v48, v48, v87
	v_mul_f16_sdwa v87, v35, s18 dst_sel:DWORD dst_unused:UNUSED_PAD src0_sel:WORD_1 src1_sel:DWORD
	v_add_f16_e32 v47, v47, v93
	v_fma_f16 v93, v41, s13, v87
	v_add_f16_e32 v90, v93, v90
	v_mul_f16_sdwa v93, v41, s13 dst_sel:DWORD dst_unused:UNUSED_PAD src0_sel:WORD_1 src1_sel:DWORD
	v_fma_f16 v87, v41, s13, -v87
	v_add_f16_e32 v87, v87, v88
	v_fma_f16 v88, v35, s18, v93
	v_add_f16_e32 v88, v88, v91
	v_mul_f16_sdwa v91, v35, s1 dst_sel:DWORD dst_unused:UNUSED_PAD src0_sel:WORD_1 src1_sel:DWORD
	v_add_f16_e32 v46, v46, v97
	v_fma_f16 v97, v35, s27, v93
	v_fma_f16 v93, v41, s5, v91
	v_add_f16_e32 v93, v93, v94
	v_mul_f16_sdwa v94, v41, s5 dst_sel:DWORD dst_unused:UNUSED_PAD src0_sel:WORD_1 src1_sel:DWORD
	v_fma_f16 v91, v41, s5, -v91
	v_add_f16_e32 v86, v86, v101
	v_fma_f16 v101, v35, s17, v94
	v_add_f16_e32 v91, v91, v92
	v_fma_f16 v92, v35, s1, v94
	v_mul_f16_sdwa v94, v35, s16 dst_sel:DWORD dst_unused:UNUSED_PAD src0_sel:WORD_1 src1_sel:DWORD
	v_add_f16_e32 v92, v92, v95
	v_fma_f16 v95, v41, s7, v94
	v_add_f16_e32 v95, v95, v98
	v_mul_f16_sdwa v98, v41, s7 dst_sel:DWORD dst_unused:UNUSED_PAD src0_sel:WORD_1 src1_sel:DWORD
	v_fma_f16 v94, v41, s7, -v94
	v_fma_f16 v102, v35, s0, v98
	v_add_f16_e32 v94, v94, v96
	v_fma_f16 v96, v35, s16, v98
	v_pk_mul_f16 v35, v35, s25 op_sel_hi:[1,0]
	v_pk_fma_f16 v98, v41, s4, v35 op_sel:[0,0,1] op_sel_hi:[1,0,0]
	v_pk_fma_f16 v35, v41, s4, v35 op_sel:[0,0,1] op_sel_hi:[1,0,0] neg_lo:[0,0,1] neg_hi:[0,0,1]
	v_fma_f16 v36, v41, s6, -v36
	v_pk_add_f16 v35, v35, v40
	v_pack_b32_f16 v40, v43, v47
	v_pack_b32_f16 v41, v42, v89
	v_add_f16_e32 v97, v97, v104
	v_add_f16_e32 v101, v101, v105
	s_barrier
	ds_write2_b32 v37, v41, v40 offset0:1 offset1:2
	v_pack_b32_f16 v40, v45, v86
	v_pack_b32_f16 v41, v44, v46
	v_add_f16_e32 v102, v102, v106
	ds_write2_b32 v37, v41, v40 offset0:3 offset1:4
	v_pack_b32_f16 v40, v93, v101
	v_pack_b32_f16 v41, v90, v97
	v_pk_add_f16 v98, v98, v100
	ds_write2_b32 v37, v41, v40 offset0:5 offset1:6
	v_pack_b32_f16 v40, v95, v102
	s_mov_b32 s0, 0xffff
	v_add_f16_e32 v96, v96, v99
	ds_write2_b32 v37, v39, v40 offset1:7
	v_bfi_b32 v39, s0, v35, v98
	v_bfi_b32 v35, s0, v98, v35
	v_add_f16_e32 v36, v36, v103
	ds_write2_b32 v37, v35, v39 offset0:8 offset1:9
	v_pack_b32_f16 v35, v91, v92
	v_pack_b32_f16 v39, v94, v96
	ds_write2_b32 v37, v39, v35 offset0:10 offset1:11
	v_pack_b32_f16 v35, v36, v48
	v_pack_b32_f16 v36, v87, v88
	;; [unrolled: 3-line block ×3, first 2 shown]
	ds_write2_b32 v37, v36, v35 offset0:14 offset1:15
	v_pack_b32_f16 v35, v81, v83
	ds_write_b32 v37, v35 offset:64
	v_add_u32_e32 v37, 0x400, v49
	s_waitcnt lgkmcnt(0)
	s_barrier
	ds_read2_b32 v[41:42], v37 offset0:33 offset1:152
	v_add_u32_e32 v37, 0x800, v49
	ds_read2_b32 v[43:44], v37 offset0:66 offset1:185
	v_add_u32_e32 v37, 0xc00, v49
	;; [unrolled: 2-line block ×3, first 2 shown]
	v_add_u32_e32 v39, 0x1a00, v49
	ds_read2_b32 v[35:36], v49 offset1:119
	ds_read2_b32 v[47:48], v37 offset0:132 offset1:251
	ds_read2_b32 v[37:38], v38 offset0:37 offset1:156
	;; [unrolled: 1-line block ×3, first 2 shown]
	s_and_saveexec_b64 s[0:1], vcc
	s_cbranch_execz .LBB0_7
; %bb.6:
	ds_read_b32 v80, v49 offset:952
	ds_read_b32 v82, v49 offset:2108
	;; [unrolled: 1-line block ×7, first 2 shown]
	s_waitcnt lgkmcnt(6)
	v_lshrrev_b32_e32 v84, 16, v80
	s_waitcnt lgkmcnt(5)
	v_lshrrev_b32_e32 v85, 16, v82
	;; [unrolled: 2-line block ×7, first 2 shown]
.LBB0_7:
	s_or_b64 exec, exec, s[0:1]
	s_waitcnt lgkmcnt(6)
	v_lshrrev_b32_e32 v86, 16, v41
	v_mul_f16_sdwa v98, v8, v86 dst_sel:DWORD dst_unused:UNUSED_PAD src0_sel:WORD_1 src1_sel:DWORD
	s_waitcnt lgkmcnt(5)
	v_lshrrev_b32_e32 v87, 16, v43
	v_fma_f16 v98, v8, v41, v98
	v_mul_f16_sdwa v41, v8, v41 dst_sel:DWORD dst_unused:UNUSED_PAD src0_sel:WORD_1 src1_sel:DWORD
	v_fma_f16 v8, v8, v86, -v41
	v_mul_f16_sdwa v41, v9, v87 dst_sel:DWORD dst_unused:UNUSED_PAD src0_sel:WORD_1 src1_sel:DWORD
	s_waitcnt lgkmcnt(4)
	v_lshrrev_b32_e32 v88, 16, v45
	v_fma_f16 v41, v9, v43, v41
	v_mul_f16_sdwa v43, v9, v43 dst_sel:DWORD dst_unused:UNUSED_PAD src0_sel:WORD_1 src1_sel:DWORD
	v_fma_f16 v9, v9, v87, -v43
	;; [unrolled: 6-line block ×5, first 2 shown]
	v_mul_f16_sdwa v37, v34, v91 dst_sel:DWORD dst_unused:UNUSED_PAD src0_sel:WORD_1 src1_sel:DWORD
	v_lshrrev_b32_e32 v92, 16, v42
	v_fma_f16 v37, v34, v39, v37
	v_mul_f16_sdwa v39, v34, v39 dst_sel:DWORD dst_unused:UNUSED_PAD src0_sel:WORD_1 src1_sel:DWORD
	v_fma_f16 v34, v34, v91, -v39
	v_mul_f16_sdwa v39, v4, v92 dst_sel:DWORD dst_unused:UNUSED_PAD src0_sel:WORD_1 src1_sel:DWORD
	v_lshrrev_b32_e32 v93, 16, v44
	v_fma_f16 v39, v4, v42, v39
	v_mul_f16_sdwa v42, v4, v42 dst_sel:DWORD dst_unused:UNUSED_PAD src0_sel:WORD_1 src1_sel:DWORD
	v_fma_f16 v4, v4, v92, -v42
	;; [unrolled: 5-line block ×6, first 2 shown]
	v_mul_f16_sdwa v38, v32, v97 dst_sel:DWORD dst_unused:UNUSED_PAD src0_sel:WORD_1 src1_sel:DWORD
	v_fma_f16 v38, v32, v40, v38
	v_mul_f16_sdwa v40, v32, v40 dst_sel:DWORD dst_unused:UNUSED_PAD src0_sel:WORD_1 src1_sel:DWORD
	v_fma_f16 v32, v32, v97, -v40
	v_add_f16_e32 v40, v98, v37
	v_add_f16_e32 v86, v8, v34
	v_sub_f16_e32 v8, v8, v34
	v_add_f16_e32 v34, v41, v47
	v_add_f16_e32 v87, v9, v33
	v_sub_f16_e32 v41, v41, v47
	v_sub_f16_e32 v9, v9, v33
	v_add_f16_e32 v33, v43, v45
	v_add_f16_e32 v47, v10, v11
	v_sub_f16_e32 v43, v45, v43
	;; [unrolled: 4-line block ×3, first 2 shown]
	v_sub_f16_e32 v88, v34, v40
	v_sub_f16_e32 v40, v40, v33
	;; [unrolled: 1-line block ×3, first 2 shown]
	v_add_f16_e32 v11, v33, v11
	v_add_f16_e32 v33, v47, v45
	v_sub_f16_e32 v89, v87, v86
	v_sub_f16_e32 v86, v86, v47
	;; [unrolled: 1-line block ×3, first 2 shown]
	v_add_f16_e32 v90, v43, v41
	v_add_f16_e32 v91, v10, v9
	v_sub_f16_e32 v92, v43, v41
	v_sub_f16_e32 v93, v10, v9
	;; [unrolled: 1-line block ×4, first 2 shown]
	v_add_f16_e32 v45, v11, v35
	v_add_f16_sdwa v35, v33, v35 dst_sel:DWORD dst_unused:UNUSED_PAD src0_sel:DWORD src1_sel:WORD_1
	v_sub_f16_e32 v43, v37, v43
	v_sub_f16_e32 v10, v8, v10
	v_add_f16_e32 v37, v90, v37
	v_add_f16_e32 v8, v91, v8
	v_lshlrev_b32_e32 v47, 16, v35
	v_mul_f16_e32 v40, 0x3a52, v40
	v_mul_f16_e32 v86, 0x3a52, v86
	s_movk_i32 s13, 0x2b26
	v_mul_f16_e32 v90, 0x2b26, v34
	v_mul_f16_e32 v91, 0x2b26, v87
	;; [unrolled: 1-line block ×4, first 2 shown]
	s_mov_b32 s4, 0xbb00
	v_mul_f16_e32 v94, 0xbb00, v41
	v_mul_f16_e32 v95, 0xbb00, v9
	s_mov_b32 s14, 0xbcab
	s_movk_i32 s5, 0x39e0
	s_mov_b32 s6, 0xb9e0
	s_mov_b32 s15, 0xb574
	s_movk_i32 s7, 0x3574
	v_or_b32_e32 v47, v47, v45
	v_fma_f16 v11, v11, s14, v45
	v_fma_f16 v33, v33, s14, v35
	v_fma_f16 v34, v34, s13, v40
	v_fma_f16 v35, v87, s13, v86
	v_fma_f16 v45, v88, s5, -v90
	v_fma_f16 v87, v89, s5, -v91
	;; [unrolled: 1-line block ×4, first 2 shown]
	v_fma_f16 v88, v43, s15, v92
	v_fma_f16 v89, v10, s15, v93
	v_fma_f16 v41, v41, s4, -v92
	v_fma_f16 v9, v9, s4, -v93
	;; [unrolled: 1-line block ×4, first 2 shown]
	s_mov_b32 s12, 0xb70e
	v_add_f16_e32 v34, v34, v11
	v_add_f16_e32 v35, v35, v33
	;; [unrolled: 1-line block ×6, first 2 shown]
	v_fma_f16 v40, v37, s12, v88
	v_fma_f16 v86, v8, s12, v89
	;; [unrolled: 1-line block ×6, first 2 shown]
	v_add_f16_e32 v10, v86, v34
	v_sub_f16_e32 v43, v35, v40
	v_add_f16_e32 v88, v8, v11
	v_sub_f16_e32 v89, v33, v37
	v_sub_f16_e32 v8, v11, v8
	v_add_f16_e32 v11, v37, v33
	v_sub_f16_e32 v33, v34, v86
	v_add_f16_e32 v34, v40, v35
	v_add_f16_e32 v35, v39, v38
	;; [unrolled: 1-line block ×3, first 2 shown]
	v_sub_f16_e32 v38, v39, v38
	v_sub_f16_e32 v4, v4, v32
	v_add_f16_e32 v32, v42, v48
	v_add_f16_e32 v39, v5, v31
	v_sub_f16_e32 v90, v45, v9
	v_add_f16_e32 v9, v9, v45
	v_sub_f16_e32 v40, v42, v48
	v_sub_f16_e32 v5, v5, v31
	v_add_f16_e32 v31, v44, v46
	v_add_f16_e32 v42, v6, v7
	v_sub_f16_e32 v44, v46, v44
	v_sub_f16_e32 v6, v7, v6
	v_add_f16_e32 v7, v32, v35
	v_add_f16_e32 v45, v39, v37
	;; [unrolled: 1-line block ×3, first 2 shown]
	v_sub_f16_e32 v41, v87, v41
	v_sub_f16_e32 v46, v32, v35
	;; [unrolled: 1-line block ×7, first 2 shown]
	v_add_f16_e32 v86, v44, v40
	v_add_f16_e32 v87, v6, v5
	v_sub_f16_e32 v92, v44, v40
	v_sub_f16_e32 v93, v6, v5
	;; [unrolled: 1-line block ×4, first 2 shown]
	v_add_f16_e32 v7, v31, v7
	v_add_f16_e32 v31, v42, v45
	v_sub_f16_e32 v44, v38, v44
	v_sub_f16_e32 v6, v4, v6
	v_add_f16_e32 v38, v86, v38
	v_add_f16_e32 v4, v87, v4
	;; [unrolled: 1-line block ×3, first 2 shown]
	v_add_f16_sdwa v36, v36, v31 dst_sel:DWORD dst_unused:UNUSED_PAD src0_sel:WORD_1 src1_sel:DWORD
	v_mul_f16_e32 v35, 0x3a52, v35
	v_mul_f16_e32 v37, 0x3a52, v37
	;; [unrolled: 1-line block ×8, first 2 shown]
	v_fma_f16 v7, v7, s14, v42
	v_fma_f16 v31, v31, s14, v36
	;; [unrolled: 1-line block ×4, first 2 shown]
	v_fma_f16 v45, v46, s5, -v45
	v_fma_f16 v86, v48, s5, -v86
	;; [unrolled: 1-line block ×4, first 2 shown]
	v_fma_f16 v46, v44, s15, v87
	v_fma_f16 v48, v6, s15, v92
	v_fma_f16 v40, v40, s4, -v87
	v_fma_f16 v5, v5, s4, -v92
	;; [unrolled: 1-line block ×4, first 2 shown]
	v_add_f16_e32 v32, v32, v7
	v_add_f16_e32 v39, v39, v31
	;; [unrolled: 1-line block ×6, first 2 shown]
	v_fma_f16 v35, v38, s12, v46
	v_fma_f16 v37, v4, s12, v48
	;; [unrolled: 1-line block ×6, first 2 shown]
	v_pack_b32_f16 v9, v9, v41
	v_pack_b32_f16 v8, v8, v11
	v_add_f16_e32 v6, v37, v32
	v_sub_f16_e32 v44, v39, v35
	v_add_f16_e32 v46, v4, v7
	v_sub_f16_e32 v87, v45, v5
	v_add_f16_e32 v92, v40, v86
	v_add_f16_e32 v5, v5, v45
	v_sub_f16_e32 v40, v86, v40
	v_sub_f16_e32 v4, v7, v4
	v_add_f16_e32 v7, v38, v31
	s_barrier
	v_pack_b32_f16 v10, v10, v43
	ds_write2_b32 v78, v9, v8 offset0:68 offset1:85
	v_pack_b32_f16 v8, v33, v34
	v_sub_f16_e32 v48, v31, v38
	v_sub_f16_e32 v31, v32, v37
	v_add_f16_e32 v32, v35, v39
	ds_write2_b32 v78, v47, v10 offset1:17
	v_pack_b32_f16 v10, v88, v89
	v_pack_b32_f16 v35, v90, v91
	ds_write_b32 v78, v8 offset:408
	v_pack_b32_f16 v8, v42, v36
	v_pack_b32_f16 v6, v6, v44
	;; [unrolled: 1-line block ×4, first 2 shown]
	ds_write2_b32 v78, v10, v35 offset0:34 offset1:51
	ds_write2_b32 v79, v8, v6 offset1:17
	v_pack_b32_f16 v6, v46, v48
	v_pack_b32_f16 v8, v87, v92
	ds_write2_b32 v79, v5, v4 offset0:68 offset1:85
	v_pack_b32_f16 v4, v31, v32
	ds_write2_b32 v79, v6, v8 offset0:34 offset1:51
	ds_write_b32 v79, v4 offset:408
	s_and_saveexec_b64 s[0:1], vcc
	s_cbranch_execz .LBB0_9
; %bb.8:
	v_mul_f16_sdwa v5, v30, v77 dst_sel:DWORD dst_unused:UNUSED_PAD src0_sel:WORD_1 src1_sel:DWORD
	v_mul_f16_sdwa v8, v2, v74 dst_sel:DWORD dst_unused:UNUSED_PAD src0_sel:WORD_1 src1_sel:DWORD
	;; [unrolled: 1-line block ×7, first 2 shown]
	v_fma_f16 v5, v30, v76, v5
	v_mul_f16_sdwa v7, v3, v75 dst_sel:DWORD dst_unused:UNUSED_PAD src0_sel:WORD_1 src1_sel:DWORD
	v_fma_f16 v8, v2, v70, v8
	v_mul_f16_sdwa v11, v1, v83 dst_sel:DWORD dst_unused:UNUSED_PAD src0_sel:WORD_1 src1_sel:DWORD
	v_fma_f16 v31, v29, v72, v31
	v_fma_f16 v30, v30, v77, -v35
	v_mul_f16_sdwa v35, v0, v82 dst_sel:DWORD dst_unused:UNUSED_PAD src0_sel:WORD_1 src1_sel:DWORD
	v_fma_f16 v2, v2, v74, -v36
	v_mul_f16_sdwa v36, v3, v71 dst_sel:DWORD dst_unused:UNUSED_PAD src0_sel:WORD_1 src1_sel:DWORD
	v_fma_f16 v29, v29, v73, -v38
	v_mul_f16_sdwa v38, v1, v81 dst_sel:DWORD dst_unused:UNUSED_PAD src0_sel:WORD_1 src1_sel:DWORD
	v_fma_f16 v4, v0, v82, v4
	v_fma_f16 v7, v3, v71, v7
	;; [unrolled: 1-line block ×3, first 2 shown]
	v_fma_f16 v0, v0, v85, -v35
	v_fma_f16 v3, v3, v75, -v36
	;; [unrolled: 1-line block ×3, first 2 shown]
	v_sub_f16_e32 v6, v4, v5
	v_sub_f16_e32 v9, v7, v8
	v_sub_f16_e32 v32, v11, v31
	v_add_f16_e32 v35, v30, v0
	v_add_f16_e32 v36, v2, v3
	;; [unrolled: 1-line block ×3, first 2 shown]
	v_sub_f16_e32 v0, v0, v30
	v_sub_f16_e32 v2, v3, v2
	;; [unrolled: 1-line block ×5, first 2 shown]
	v_add_f16_e32 v9, v9, v32
	v_add_f16_e32 v4, v5, v4
	;; [unrolled: 1-line block ×4, first 2 shown]
	v_sub_f16_e32 v3, v0, v2
	v_sub_f16_e32 v29, v2, v1
	v_add_f16_e32 v2, v2, v1
	v_add_f16_e32 v9, v9, v6
	v_add_f16_e32 v41, v38, v35
	v_add_f16_e32 v43, v8, v4
	v_add_f16_e32 v2, v2, v0
	v_sub_f16_e32 v6, v32, v6
	v_sub_f16_e32 v0, v1, v0
	v_mul_f16_e32 v33, 0x3846, v33
	v_sub_f16_e32 v37, v35, v36
	v_sub_f16_e32 v39, v36, v38
	v_add_f16_e32 v36, v36, v41
	v_sub_f16_e32 v7, v4, v5
	v_sub_f16_e32 v11, v5, v8
	v_add_f16_e32 v5, v5, v43
	v_mul_f16_e32 v29, 0x3846, v29
	v_mul_f16_e32 v32, 0xbb00, v6
	;; [unrolled: 1-line block ×3, first 2 shown]
	v_fma_f16 v34, v10, s15, v33
	v_mul_f16_e32 v37, 0x3a52, v37
	v_mul_f16_e32 v40, 0x2b26, v39
	v_add_f16_e32 v41, v84, v36
	v_mul_f16_e32 v7, 0x3a52, v7
	v_mul_f16_e32 v31, 0x2b26, v11
	v_add_f16_e32 v43, v80, v5
	v_fma_f16 v30, v3, s15, v29
	v_fma_f16 v10, v10, s7, -v32
	v_sub_f16_e32 v32, v38, v35
	v_sub_f16_e32 v4, v8, v4
	v_fma_f16 v1, v3, s7, -v1
	v_fma_f16 v0, v0, s4, -v29
	v_fma_f16 v36, v36, s14, v41
	v_fma_f16 v11, v11, s13, v7
	;; [unrolled: 1-line block ×4, first 2 shown]
	v_fma_f16 v35, v32, s6, -v37
	v_fma_f16 v7, v4, s6, -v7
	v_fma_f16 v1, v2, s12, v1
	v_fma_f16 v8, v32, s5, -v40
	v_fma_f16 v6, v6, s4, -v33
	v_fma_f16 v0, v2, s12, v0
	v_fma_f16 v2, v4, s5, -v31
	v_fma_f16 v10, v9, s12, v10
	v_add_f16_e32 v35, v35, v36
	v_add_f16_e32 v7, v7, v5
	;; [unrolled: 1-line block ×3, first 2 shown]
	v_fma_f16 v6, v9, s12, v6
	v_add_f16_e32 v2, v2, v5
	s_movk_i32 s4, 0x77
	v_fma_f16 v34, v9, s12, v34
	v_fma_f16 v39, v39, s13, v37
	v_add_f16_e32 v11, v11, v5
	v_sub_f16_e32 v3, v7, v1
	v_sub_f16_e32 v9, v8, v6
	v_add_f16_e32 v4, v0, v2
	v_add_f16_e32 v5, v6, v8
	v_sub_f16_e32 v0, v2, v0
	v_sub_f16_e32 v2, v35, v10
	v_add_f16_e32 v1, v1, v7
	v_mad_legacy_u16 v8, v68, s4, v69
	v_add_f16_e32 v39, v39, v36
	v_add_f16_e32 v37, v10, v35
	v_lshlrev_b32_e32 v8, 2, v8
	v_pack_b32_f16 v1, v1, v2
	v_pack_b32_f16 v0, v0, v5
	v_add_f16_e32 v42, v34, v39
	v_sub_f16_e32 v44, v11, v30
	v_sub_f16_e32 v6, v39, v34
	v_add_f16_e32 v7, v30, v11
	ds_write2_b32 v8, v1, v0 offset0:34 offset1:51
	v_pack_b32_f16 v0, v4, v9
	v_pack_b32_f16 v1, v3, v37
	;; [unrolled: 1-line block ×4, first 2 shown]
	ds_write2_b32 v8, v0, v1 offset0:68 offset1:85
	v_pack_b32_f16 v0, v44, v42
	ds_write2_b32 v8, v10, v6 offset1:17
	ds_write_b32 v8, v0 offset:408
.LBB0_9:
	s_or_b64 exec, exec, s[0:1]
	s_waitcnt lgkmcnt(0)
	s_barrier
	ds_read2_b32 v[29:30], v49 offset1:119
	v_add_u32_e32 v7, 0x200, v49
	ds_read2_b32 v[8:9], v7 offset0:110 offset1:229
	v_add_u32_e32 v6, 0x600, v49
	ds_read2_b32 v[10:11], v6 offset0:92 offset1:211
	s_waitcnt lgkmcnt(2)
	v_lshrrev_b32_e32 v3, 16, v30
	v_mul_f16_sdwa v76, v12, v3 dst_sel:DWORD dst_unused:UNUSED_PAD src0_sel:WORD_1 src1_sel:DWORD
	s_waitcnt lgkmcnt(1)
	v_lshrrev_b32_e32 v41, 16, v8
	v_fma_f16 v76, v12, v30, v76
	v_mul_f16_sdwa v30, v12, v30 dst_sel:DWORD dst_unused:UNUSED_PAD src0_sel:WORD_1 src1_sel:DWORD
	v_fma_f16 v30, v12, v3, -v30
	v_mul_f16_sdwa v3, v13, v41 dst_sel:DWORD dst_unused:UNUSED_PAD src0_sel:WORD_1 src1_sel:DWORD
	v_lshrrev_b32_e32 v42, 16, v9
	v_add_u32_e32 v5, 0xa00, v49
	v_fma_f16 v77, v13, v8, v3
	v_mul_f16_sdwa v3, v13, v8 dst_sel:DWORD dst_unused:UNUSED_PAD src0_sel:WORD_1 src1_sel:DWORD
	ds_read2_b32 v[31:32], v5 offset0:74 offset1:193
	v_fma_f16 v41, v13, v41, -v3
	v_mul_f16_sdwa v3, v14, v42 dst_sel:DWORD dst_unused:UNUSED_PAD src0_sel:WORD_1 src1_sel:DWORD
	s_waitcnt lgkmcnt(1)
	v_lshrrev_b32_e32 v43, 16, v10
	v_fma_f16 v78, v14, v9, v3
	v_mul_f16_sdwa v3, v14, v9 dst_sel:DWORD dst_unused:UNUSED_PAD src0_sel:WORD_1 src1_sel:DWORD
	v_fma_f16 v42, v14, v42, -v3
	v_mul_f16_sdwa v3, v15, v43 dst_sel:DWORD dst_unused:UNUSED_PAD src0_sel:WORD_1 src1_sel:DWORD
	v_lshrrev_b32_e32 v44, 16, v11
	v_add_u32_e32 v4, 0xe00, v49
	v_fma_f16 v79, v15, v10, v3
	v_mul_f16_sdwa v3, v15, v10 dst_sel:DWORD dst_unused:UNUSED_PAD src0_sel:WORD_1 src1_sel:DWORD
	ds_read2_b32 v[33:34], v4 offset0:56 offset1:175
	v_fma_f16 v43, v15, v43, -v3
	v_mul_f16_sdwa v3, v16, v44 dst_sel:DWORD dst_unused:UNUSED_PAD src0_sel:WORD_1 src1_sel:DWORD
	s_waitcnt lgkmcnt(1)
	v_lshrrev_b32_e32 v45, 16, v31
	v_fma_f16 v80, v16, v11, v3
	v_mul_f16_sdwa v3, v16, v11 dst_sel:DWORD dst_unused:UNUSED_PAD src0_sel:WORD_1 src1_sel:DWORD
	v_fma_f16 v44, v16, v44, -v3
	v_mul_f16_sdwa v3, v17, v45 dst_sel:DWORD dst_unused:UNUSED_PAD src0_sel:WORD_1 src1_sel:DWORD
	v_add_u32_e32 v2, 0x1200, v49
	v_lshrrev_b32_e32 v46, 16, v32
	v_fma_f16 v16, v17, v31, v3
	v_mul_f16_sdwa v3, v17, v31 dst_sel:DWORD dst_unused:UNUSED_PAD src0_sel:WORD_1 src1_sel:DWORD
	ds_read2_b32 v[35:36], v2 offset0:38 offset1:157
	v_fma_f16 v17, v17, v45, -v3
	v_mul_f16_sdwa v3, v18, v46 dst_sel:DWORD dst_unused:UNUSED_PAD src0_sel:WORD_1 src1_sel:DWORD
	s_waitcnt lgkmcnt(1)
	v_lshrrev_b32_e32 v47, 16, v33
	v_fma_f16 v12, v18, v32, v3
	v_mul_f16_sdwa v3, v18, v32 dst_sel:DWORD dst_unused:UNUSED_PAD src0_sel:WORD_1 src1_sel:DWORD
	v_fma_f16 v13, v18, v46, -v3
	v_mul_f16_sdwa v3, v19, v47 dst_sel:DWORD dst_unused:UNUSED_PAD src0_sel:WORD_1 src1_sel:DWORD
	v_lshrrev_b32_e32 v48, 16, v34
	v_add_u32_e32 v1, 0x1600, v49
	v_fma_f16 v8, v19, v33, v3
	v_mul_f16_sdwa v3, v19, v33 dst_sel:DWORD dst_unused:UNUSED_PAD src0_sel:WORD_1 src1_sel:DWORD
	ds_read2_b32 v[37:38], v1 offset0:20 offset1:139
	v_fma_f16 v9, v19, v47, -v3
	v_mul_f16_sdwa v3, v20, v48 dst_sel:DWORD dst_unused:UNUSED_PAD src0_sel:WORD_1 src1_sel:DWORD
	s_waitcnt lgkmcnt(1)
	v_lshrrev_b32_e32 v68, 16, v35
	v_fma_f16 v10, v20, v34, v3
	v_mul_f16_sdwa v3, v20, v34 dst_sel:DWORD dst_unused:UNUSED_PAD src0_sel:WORD_1 src1_sel:DWORD
	v_fma_f16 v11, v20, v48, -v3
	v_mul_f16_sdwa v3, v21, v68 dst_sel:DWORD dst_unused:UNUSED_PAD src0_sel:WORD_1 src1_sel:DWORD
	v_add_u32_e32 v0, 0x1800, v49
	v_lshrrev_b32_e32 v69, 16, v36
	v_fma_f16 v14, v21, v35, v3
	v_mul_f16_sdwa v3, v21, v35 dst_sel:DWORD dst_unused:UNUSED_PAD src0_sel:WORD_1 src1_sel:DWORD
	ds_read2_b32 v[39:40], v0 offset0:130 offset1:249
	v_fma_f16 v15, v21, v68, -v3
	v_mul_f16_sdwa v3, v22, v69 dst_sel:DWORD dst_unused:UNUSED_PAD src0_sel:WORD_1 src1_sel:DWORD
	s_waitcnt lgkmcnt(1)
	v_lshrrev_b32_e32 v71, 16, v37
	v_fma_f16 v18, v22, v36, v3
	v_mul_f16_sdwa v3, v22, v36 dst_sel:DWORD dst_unused:UNUSED_PAD src0_sel:WORD_1 src1_sel:DWORD
	v_fma_f16 v19, v22, v69, -v3
	v_mul_f16_sdwa v3, v23, v71 dst_sel:DWORD dst_unused:UNUSED_PAD src0_sel:WORD_1 src1_sel:DWORD
	v_lshrrev_b32_e32 v72, 16, v38
	v_fma_f16 v20, v23, v37, v3
	v_mul_f16_sdwa v3, v23, v37 dst_sel:DWORD dst_unused:UNUSED_PAD src0_sel:WORD_1 src1_sel:DWORD
	ds_read_b32 v70, v49 offset:7616
	v_fma_f16 v21, v23, v71, -v3
	v_mul_f16_sdwa v3, v24, v72 dst_sel:DWORD dst_unused:UNUSED_PAD src0_sel:WORD_1 src1_sel:DWORD
	s_waitcnt lgkmcnt(1)
	v_lshrrev_b32_e32 v73, 16, v39
	v_fma_f16 v22, v24, v38, v3
	v_mul_f16_sdwa v3, v24, v38 dst_sel:DWORD dst_unused:UNUSED_PAD src0_sel:WORD_1 src1_sel:DWORD
	v_fma_f16 v23, v24, v72, -v3
	v_mul_f16_sdwa v3, v25, v73 dst_sel:DWORD dst_unused:UNUSED_PAD src0_sel:WORD_1 src1_sel:DWORD
	v_lshrrev_b32_e32 v74, 16, v40
	v_fma_f16 v24, v25, v39, v3
	v_mul_f16_sdwa v3, v25, v39 dst_sel:DWORD dst_unused:UNUSED_PAD src0_sel:WORD_1 src1_sel:DWORD
	v_fma_f16 v25, v25, v73, -v3
	v_mul_f16_sdwa v3, v26, v74 dst_sel:DWORD dst_unused:UNUSED_PAD src0_sel:WORD_1 src1_sel:DWORD
	s_waitcnt lgkmcnt(0)
	v_lshrrev_b32_e32 v75, 16, v70
	v_fma_f16 v31, v26, v40, v3
	v_mul_f16_sdwa v3, v26, v40 dst_sel:DWORD dst_unused:UNUSED_PAD src0_sel:WORD_1 src1_sel:DWORD
	v_fma_f16 v26, v26, v74, -v3
	v_mul_f16_sdwa v3, v27, v75 dst_sel:DWORD dst_unused:UNUSED_PAD src0_sel:WORD_1 src1_sel:DWORD
	v_fma_f16 v32, v27, v70, v3
	v_mul_f16_sdwa v3, v27, v70 dst_sel:DWORD dst_unused:UNUSED_PAD src0_sel:WORD_1 src1_sel:DWORD
	v_fma_f16 v27, v27, v75, -v3
	v_add_f16_e32 v3, v76, v29
	v_add_f16_sdwa v33, v30, v29 dst_sel:DWORD dst_unused:UNUSED_PAD src0_sel:DWORD src1_sel:WORD_1
	v_add_f16_e32 v3, v3, v77
	v_add_f16_e32 v33, v33, v41
	;; [unrolled: 1-line block ×29, first 2 shown]
	v_add_f16_sdwa v33, v33, v27 dst_sel:WORD_1 dst_unused:UNUSED_PAD src0_sel:DWORD src1_sel:DWORD
	v_add_f16_e32 v34, v30, v27
	v_sub_f16_e32 v27, v30, v27
	v_or_b32_e32 v3, v33, v3
	v_add_f16_e32 v33, v76, v32
	v_sub_f16_e32 v32, v76, v32
	s_mov_b32 s16, 0xb5c8
	v_mul_f16_e32 v30, 0xb5c8, v27
	s_movk_i32 s17, 0x3b76
	v_mul_f16_e32 v36, 0x3b76, v34
	s_movk_i32 s18, 0x35c8
	s_mov_b32 s12, 0xb964
	v_mul_f16_e32 v38, 0xb964, v27
	s_movk_i32 s13, 0x39e9
	v_mul_f16_e32 v40, 0x39e9, v34
	s_movk_i32 s14, 0x3964
	s_mov_b32 s5, 0xbb29
	v_mul_f16_e32 v46, 0xbb29, v27
	s_movk_i32 s6, 0x3722
	v_mul_f16_e32 v48, 0x3722, v34
	s_movk_i32 s7, 0x3b29
	s_mov_b32 s0, 0xbbf7
	v_mul_f16_e32 v69, 0xbbf7, v27
	s_movk_i32 s1, 0x2de8
	v_mul_f16_e32 v71, 0x2de8, v34
	s_movk_i32 s4, 0x3bf7
	s_mov_b32 s15, 0xbbb2
	v_mul_f16_e32 v73, 0xbbb2, v27
	s_mov_b32 s19, 0xb461
	v_mul_f16_e32 v75, 0xb461, v34
	s_movk_i32 s20, 0x3bb2
	s_mov_b32 s21, 0xba62
	v_mul_f16_e32 v81, 0xba62, v27
	s_mov_b32 s22, 0xb8d2
	v_mul_f16_e32 v83, 0xb8d2, v34
	s_movk_i32 s23, 0x3a62
	;; [unrolled: 5-line block ×3, first 2 shown]
	s_mov_b32 s27, 0xb1e1
	v_mul_f16_e32 v27, 0xb1e1, v27
	s_mov_b32 s28, 0xbbdd
	v_mul_f16_e32 v34, 0xbbdd, v34
	v_fma_f16 v35, v33, s17, v30
	v_fma_f16 v37, v32, s18, v36
	v_fma_f16 v30, v33, s17, -v30
	v_fma_f16 v36, v32, s16, v36
	v_fma_f16 v39, v33, s13, v38
	v_fma_f16 v45, v32, s14, v40
	v_fma_f16 v38, v33, s13, -v38
	v_fma_f16 v40, v32, s12, v40
	;; [unrolled: 4-line block ×8, first 2 shown]
	v_add_f16_e32 v33, v41, v26
	v_sub_f16_e32 v26, v41, v26
	v_add_f16_e32 v35, v35, v29
	v_add_f16_sdwa v37, v37, v29 dst_sel:DWORD dst_unused:UNUSED_PAD src0_sel:DWORD src1_sel:WORD_1
	v_add_f16_e32 v30, v30, v29
	v_add_f16_sdwa v36, v36, v29 dst_sel:DWORD dst_unused:UNUSED_PAD src0_sel:DWORD src1_sel:WORD_1
	v_add_f16_e32 v39, v39, v29
	v_add_f16_sdwa v45, v45, v29 dst_sel:DWORD dst_unused:UNUSED_PAD src0_sel:DWORD src1_sel:WORD_1
	v_add_f16_e32 v38, v38, v29
	v_add_f16_sdwa v40, v40, v29 dst_sel:DWORD dst_unused:UNUSED_PAD src0_sel:DWORD src1_sel:WORD_1
	v_add_f16_e32 v47, v47, v29
	v_add_f16_sdwa v68, v68, v29 dst_sel:DWORD dst_unused:UNUSED_PAD src0_sel:DWORD src1_sel:WORD_1
	v_add_f16_e32 v46, v46, v29
	v_add_f16_sdwa v48, v48, v29 dst_sel:DWORD dst_unused:UNUSED_PAD src0_sel:DWORD src1_sel:WORD_1
	v_add_f16_e32 v70, v70, v29
	v_add_f16_sdwa v72, v72, v29 dst_sel:DWORD dst_unused:UNUSED_PAD src0_sel:DWORD src1_sel:WORD_1
	v_add_f16_e32 v69, v69, v29
	v_add_f16_sdwa v71, v71, v29 dst_sel:DWORD dst_unused:UNUSED_PAD src0_sel:DWORD src1_sel:WORD_1
	v_add_f16_e32 v74, v74, v29
	v_add_f16_sdwa v76, v76, v29 dst_sel:DWORD dst_unused:UNUSED_PAD src0_sel:DWORD src1_sel:WORD_1
	v_add_f16_e32 v73, v73, v29
	v_add_f16_sdwa v75, v75, v29 dst_sel:DWORD dst_unused:UNUSED_PAD src0_sel:DWORD src1_sel:WORD_1
	v_add_f16_e32 v82, v82, v29
	v_add_f16_sdwa v84, v84, v29 dst_sel:DWORD dst_unused:UNUSED_PAD src0_sel:DWORD src1_sel:WORD_1
	v_add_f16_e32 v81, v81, v29
	v_add_f16_sdwa v83, v83, v29 dst_sel:DWORD dst_unused:UNUSED_PAD src0_sel:DWORD src1_sel:WORD_1
	v_add_f16_e32 v86, v86, v29
	v_add_f16_sdwa v88, v88, v29 dst_sel:DWORD dst_unused:UNUSED_PAD src0_sel:DWORD src1_sel:WORD_1
	v_add_f16_e32 v85, v85, v29
	v_add_f16_sdwa v87, v87, v29 dst_sel:DWORD dst_unused:UNUSED_PAD src0_sel:DWORD src1_sel:WORD_1
	v_add_f16_e32 v89, v89, v29
	v_add_f16_sdwa v90, v90, v29 dst_sel:DWORD dst_unused:UNUSED_PAD src0_sel:DWORD src1_sel:WORD_1
	v_add_f16_e32 v27, v27, v29
	v_add_f16_sdwa v29, v32, v29 dst_sel:DWORD dst_unused:UNUSED_PAD src0_sel:DWORD src1_sel:WORD_1
	v_add_f16_e32 v32, v77, v31
	v_mul_f16_e32 v34, 0xb964, v26
	v_fma_f16 v41, v32, s13, v34
	v_sub_f16_e32 v31, v77, v31
	v_add_f16_e32 v35, v41, v35
	v_mul_f16_e32 v41, 0x39e9, v33
	v_fma_f16 v34, v32, s13, -v34
	v_add_f16_e32 v30, v34, v30
	v_fma_f16 v34, v31, s12, v41
	v_add_f16_e32 v34, v34, v36
	v_mul_f16_e32 v36, 0xbbf7, v26
	v_fma_f16 v77, v31, s14, v41
	v_fma_f16 v41, v32, s1, v36
	v_add_f16_e32 v39, v41, v39
	v_mul_f16_e32 v41, 0x2de8, v33
	v_fma_f16 v36, v32, s1, -v36
	v_add_f16_e32 v36, v36, v38
	v_fma_f16 v38, v31, s0, v41
	v_add_f16_e32 v38, v38, v40
	v_mul_f16_e32 v40, 0xba62, v26
	v_add_f16_e32 v37, v77, v37
	v_fma_f16 v77, v31, s4, v41
	v_fma_f16 v41, v32, s22, v40
	v_add_f16_e32 v41, v41, v47
	v_mul_f16_e32 v47, 0xb8d2, v33
	v_fma_f16 v40, v32, s22, -v40
	v_add_f16_e32 v45, v77, v45
	v_fma_f16 v77, v31, s23, v47
	v_add_f16_e32 v40, v40, v46
	v_fma_f16 v46, v31, s21, v47
	v_mul_f16_e32 v47, 0xb1e1, v26
	v_add_f16_e32 v46, v46, v48
	v_fma_f16 v48, v32, s28, v47
	v_add_f16_e32 v48, v48, v70
	v_mul_f16_e32 v70, 0xbbdd, v33
	v_fma_f16 v47, v32, s28, -v47
	v_add_f16_e32 v68, v77, v68
	v_fma_f16 v77, v31, s29, v70
	v_add_f16_e32 v47, v47, v69
	v_fma_f16 v69, v31, s27, v70
	v_mul_f16_e32 v70, 0x3836, v26
	v_add_f16_e32 v69, v69, v71
	;; [unrolled: 10-line block ×3, first 2 shown]
	v_add_f16_e32 v73, v73, v75
	v_fma_f16 v75, v32, s19, v74
	v_mul_f16_e32 v77, 0xb461, v33
	v_fma_f16 v74, v32, s19, -v74
	v_add_f16_e32 v75, v75, v82
	v_fma_f16 v82, v31, s15, v77
	v_add_f16_e32 v74, v74, v81
	v_fma_f16 v77, v31, s20, v77
	v_mul_f16_e32 v81, 0x3b29, v26
	v_add_f16_e32 v82, v82, v84
	v_add_f16_e32 v77, v77, v83
	v_fma_f16 v83, v32, s6, v81
	v_mul_f16_e32 v84, 0x3722, v33
	v_fma_f16 v81, v32, s6, -v81
	v_mul_f16_e32 v26, 0x35c8, v26
	v_add_f16_e32 v83, v83, v86
	v_fma_f16 v86, v31, s5, v84
	v_add_f16_e32 v81, v81, v85
	v_fma_f16 v84, v31, s7, v84
	v_fma_f16 v85, v32, s17, v26
	v_mul_f16_e32 v33, 0x3b76, v33
	v_fma_f16 v26, v32, s17, -v26
	v_add_f16_e32 v84, v84, v87
	v_fma_f16 v87, v31, s16, v33
	v_add_f16_e32 v26, v26, v27
	v_fma_f16 v27, v31, s18, v33
	v_add_f16_e32 v31, v42, v25
	v_sub_f16_e32 v25, v42, v25
	v_add_f16_e32 v27, v27, v29
	v_add_f16_e32 v29, v78, v24
	v_mul_f16_e32 v32, 0xbb29, v25
	v_fma_f16 v33, v29, s6, v32
	v_sub_f16_e32 v24, v78, v24
	v_add_f16_e32 v33, v33, v35
	v_mul_f16_e32 v35, 0x3722, v31
	v_fma_f16 v32, v29, s6, -v32
	v_add_f16_e32 v30, v32, v30
	v_fma_f16 v32, v24, s5, v35
	v_add_f16_e32 v32, v32, v34
	v_mul_f16_e32 v34, 0xba62, v25
	v_fma_f16 v42, v24, s7, v35
	v_fma_f16 v35, v29, s22, v34
	v_add_f16_e32 v35, v35, v39
	v_mul_f16_e32 v39, 0xb8d2, v31
	v_fma_f16 v34, v29, s22, -v34
	v_add_f16_e32 v34, v34, v36
	v_fma_f16 v36, v24, s21, v39
	v_add_f16_e32 v36, v36, v38
	v_mul_f16_e32 v38, 0x31e1, v25
	v_add_f16_e32 v37, v42, v37
	v_fma_f16 v42, v24, s23, v39
	v_fma_f16 v39, v29, s28, v38
	v_add_f16_e32 v39, v39, v41
	v_mul_f16_e32 v41, 0xbbdd, v31
	v_fma_f16 v38, v29, s28, -v38
	v_add_f16_e32 v42, v42, v45
	v_fma_f16 v45, v24, s27, v41
	v_add_f16_e32 v38, v38, v40
	v_fma_f16 v40, v24, s29, v41
	v_mul_f16_e32 v41, 0x3bb2, v25
	v_add_f16_e32 v40, v40, v46
	v_fma_f16 v46, v29, s19, v41
	v_add_f16_e32 v46, v46, v48
	v_mul_f16_e32 v48, 0xb461, v31
	v_fma_f16 v41, v29, s19, -v41
	v_add_f16_e32 v45, v45, v68
	v_fma_f16 v68, v24, s15, v48
	v_add_f16_e32 v41, v41, v47
	v_fma_f16 v47, v24, s20, v48
	v_mul_f16_e32 v48, 0x3964, v25
	v_add_f16_e32 v47, v47, v69
	v_fma_f16 v69, v29, s13, v48
	v_add_f16_e32 v69, v69, v71
	v_mul_f16_e32 v71, 0x39e9, v31
	v_fma_f16 v48, v29, s13, -v48
	v_add_f16_e32 v68, v68, v72
	v_fma_f16 v72, v24, s12, v71
	v_add_f16_e32 v48, v48, v70
	v_fma_f16 v70, v24, s14, v71
	v_mul_f16_e32 v71, 0xb5c8, v25
	v_add_f16_e32 v70, v70, v73
	v_fma_f16 v73, v29, s17, v71
	v_add_f16_e32 v73, v73, v75
	v_mul_f16_e32 v75, 0x3b76, v31
	v_fma_f16 v71, v29, s17, -v71
	v_add_f16_e32 v72, v72, v76
	v_fma_f16 v76, v24, s18, v75
	v_add_f16_e32 v71, v71, v74
	v_fma_f16 v74, v24, s16, v75
	v_mul_f16_e32 v75, 0xbbf7, v25
	v_add_f16_e32 v74, v74, v77
	v_fma_f16 v77, v29, s1, v75
	v_mul_f16_e32 v78, 0x2de8, v31
	v_mul_f16_e32 v31, 0xbacd, v31
	v_add_f16_e32 v76, v76, v82
	v_add_f16_e32 v77, v77, v83
	v_fma_f16 v82, v24, s4, v78
	v_fma_f16 v75, v29, s1, -v75
	v_fma_f16 v78, v24, s0, v78
	v_mul_f16_e32 v25, 0xb836, v25
	v_fma_f16 v83, v24, s26, v31
	v_fma_f16 v24, v24, s24, v31
	v_add_f16_e32 v75, v75, v81
	v_fma_f16 v81, v29, s25, v25
	v_fma_f16 v25, v29, s25, -v25
	v_add_f16_e32 v24, v24, v27
	v_add_f16_e32 v27, v43, v23
	v_sub_f16_e32 v23, v43, v23
	v_add_f16_e32 v25, v25, v26
	v_add_f16_e32 v26, v79, v22
	v_mul_f16_e32 v29, 0xbbf7, v23
	v_fma_f16 v31, v26, s1, v29
	v_sub_f16_e32 v22, v79, v22
	v_add_f16_e32 v31, v31, v33
	v_mul_f16_e32 v33, 0x2de8, v27
	v_fma_f16 v29, v26, s1, -v29
	v_add_f16_e32 v29, v29, v30
	v_fma_f16 v30, v22, s0, v33
	v_add_f16_e32 v30, v30, v32
	v_mul_f16_e32 v32, 0xb1e1, v23
	v_fma_f16 v43, v22, s4, v33
	v_fma_f16 v33, v26, s28, v32
	v_add_f16_e32 v33, v33, v35
	v_mul_f16_e32 v35, 0xbbdd, v27
	v_fma_f16 v32, v26, s28, -v32
	v_add_f16_e32 v37, v43, v37
	v_fma_f16 v43, v22, s29, v35
	v_add_f16_e32 v32, v32, v34
	v_fma_f16 v34, v22, s27, v35
	v_mul_f16_e32 v35, 0x3bb2, v23
	v_add_f16_e32 v34, v34, v36
	v_fma_f16 v36, v26, s19, v35
	v_add_f16_e32 v36, v36, v39
	v_mul_f16_e32 v39, 0xb461, v27
	v_fma_f16 v35, v26, s19, -v35
	v_add_f16_e32 v42, v43, v42
	v_fma_f16 v43, v22, s15, v39
	v_add_f16_e32 v35, v35, v38
	v_fma_f16 v38, v22, s20, v39
	v_mul_f16_e32 v39, 0x35c8, v23
	v_add_f16_e32 v43, v43, v45
	v_add_f16_e32 v38, v38, v40
	v_fma_f16 v40, v26, s17, v39
	v_mul_f16_e32 v45, 0x3b76, v27
	v_fma_f16 v39, v26, s17, -v39
	v_add_f16_e32 v40, v40, v46
	v_fma_f16 v46, v22, s16, v45
	v_add_f16_e32 v39, v39, v41
	v_fma_f16 v41, v22, s18, v45
	v_mul_f16_e32 v45, 0xbb29, v23
	v_add_f16_e32 v46, v46, v68
	v_add_f16_e32 v41, v41, v47
	v_fma_f16 v47, v26, s6, v45
	;; [unrolled: 10-line block ×4, first 2 shown]
	v_mul_f16_e32 v76, 0xb8d2, v27
	v_fma_f16 v72, v26, s22, -v72
	v_mul_f16_e32 v23, 0x3964, v23
	v_add_f16_e32 v78, v78, v84
	v_add_f16_e32 v74, v74, v77
	v_fma_f16 v77, v22, s21, v76
	v_add_f16_e32 v72, v72, v75
	v_fma_f16 v75, v22, s23, v76
	v_fma_f16 v76, v26, s13, v23
	v_mul_f16_e32 v27, 0x39e9, v27
	v_fma_f16 v23, v26, s13, -v23
	v_add_f16_e32 v75, v75, v78
	v_fma_f16 v78, v22, s12, v27
	v_add_f16_e32 v23, v23, v25
	v_fma_f16 v22, v22, s14, v27
	v_add_f16_e32 v25, v44, v21
	v_sub_f16_e32 v21, v44, v21
	v_add_f16_e32 v22, v22, v24
	v_add_f16_e32 v24, v80, v20
	v_mul_f16_e32 v26, 0xbbb2, v21
	v_fma_f16 v27, v24, s19, v26
	v_sub_f16_e32 v20, v80, v20
	v_add_f16_e32 v27, v27, v31
	v_mul_f16_e32 v31, 0xb461, v25
	v_fma_f16 v26, v24, s19, -v26
	v_add_f16_e32 v26, v26, v29
	v_fma_f16 v29, v20, s15, v31
	v_add_f16_e32 v29, v29, v30
	v_mul_f16_e32 v30, 0x3836, v21
	v_fma_f16 v44, v20, s20, v31
	v_fma_f16 v31, v24, s25, v30
	v_add_f16_e32 v31, v31, v33
	v_mul_f16_e32 v33, 0xbacd, v25
	v_fma_f16 v30, v24, s25, -v30
	v_add_f16_e32 v37, v44, v37
	v_fma_f16 v44, v20, s24, v33
	v_add_f16_e32 v30, v30, v32
	v_fma_f16 v32, v20, s26, v33
	v_mul_f16_e32 v33, 0x3964, v21
	v_add_f16_e32 v32, v32, v34
	v_fma_f16 v34, v24, s13, v33
	v_add_f16_e32 v34, v34, v36
	v_mul_f16_e32 v36, 0x39e9, v25
	v_fma_f16 v33, v24, s13, -v33
	v_add_f16_e32 v42, v44, v42
	v_fma_f16 v44, v20, s12, v36
	v_add_f16_e32 v33, v33, v35
	v_fma_f16 v35, v20, s14, v36
	v_mul_f16_e32 v36, 0xbb29, v21
	v_add_f16_e32 v35, v35, v38
	;; [unrolled: 10-line block ×3, first 2 shown]
	v_add_f16_e32 v39, v39, v41
	v_fma_f16 v41, v24, s28, v40
	v_mul_f16_e32 v46, 0xbbdd, v25
	v_fma_f16 v40, v24, s28, -v40
	v_add_f16_e32 v41, v41, v47
	v_fma_f16 v47, v20, s29, v46
	v_add_f16_e32 v40, v40, v45
	v_fma_f16 v45, v20, s27, v46
	v_mul_f16_e32 v46, 0x3bf7, v21
	v_add_f16_e32 v47, v47, v69
	v_add_f16_e32 v45, v45, v48
	v_fma_f16 v48, v24, s1, v46
	v_mul_f16_e32 v69, 0x2de8, v25
	v_fma_f16 v46, v24, s1, -v46
	v_add_f16_e32 v48, v48, v70
	v_fma_f16 v70, v20, s0, v69
	v_add_f16_e32 v46, v46, v68
	v_fma_f16 v68, v20, s4, v69
	v_mul_f16_e32 v69, 0xb5c8, v21
	v_add_f16_e32 v70, v70, v73
	v_add_f16_e32 v68, v68, v71
	v_fma_f16 v71, v24, s17, v69
	v_mul_f16_e32 v73, 0x3b76, v25
	v_fma_f16 v69, v24, s17, -v69
	v_mul_f16_e32 v21, 0xba62, v21
	v_add_f16_e32 v71, v71, v74
	v_fma_f16 v74, v20, s18, v73
	v_add_f16_e32 v69, v69, v72
	v_fma_f16 v72, v20, s16, v73
	v_fma_f16 v73, v24, s22, v21
	v_mul_f16_e32 v25, 0xb8d2, v25
	v_fma_f16 v21, v24, s22, -v21
	v_add_f16_e32 v72, v72, v75
	v_fma_f16 v75, v20, s23, v25
	v_add_f16_e32 v21, v21, v23
	v_fma_f16 v20, v20, s21, v25
	v_add_f16_e32 v23, v17, v19
	v_sub_f16_e32 v17, v17, v19
	v_add_f16_e32 v20, v20, v22
	v_add_f16_e32 v22, v16, v18
	v_sub_f16_e32 v16, v16, v18
	v_mul_f16_e32 v18, 0xba62, v17
	v_fma_f16 v19, v22, s22, v18
	v_mul_f16_e32 v24, 0xb8d2, v23
	v_fma_f16 v18, v22, s22, -v18
	v_fma_f16 v25, v16, s23, v24
	v_add_f16_e32 v18, v18, v26
	v_fma_f16 v24, v16, s21, v24
	v_mul_f16_e32 v26, 0x3bb2, v17
	v_add_f16_e32 v19, v19, v27
	v_add_f16_e32 v24, v24, v29
	v_fma_f16 v27, v22, s19, v26
	v_mul_f16_e32 v29, 0xb461, v23
	v_fma_f16 v26, v22, s19, -v26
	v_add_f16_e32 v27, v27, v31
	v_fma_f16 v31, v16, s15, v29
	v_add_f16_e32 v26, v26, v30
	v_fma_f16 v29, v16, s20, v29
	v_mul_f16_e32 v30, 0xb5c8, v17
	v_add_f16_e32 v29, v29, v32
	v_fma_f16 v32, v22, s17, v30
	v_add_f16_e32 v32, v32, v34
	v_mul_f16_e32 v34, 0x3b76, v23
	v_fma_f16 v30, v22, s17, -v30
	v_add_f16_e32 v25, v25, v37
	v_fma_f16 v37, v16, s18, v34
	v_add_f16_e32 v30, v30, v33
	v_fma_f16 v33, v16, s16, v34
	v_mul_f16_e32 v34, 0xb836, v17
	v_add_f16_e32 v33, v33, v35
	v_fma_f16 v35, v22, s25, v34
	v_add_f16_e32 v35, v35, v38
	;; [unrolled: 10-line block ×3, first 2 shown]
	v_mul_f16_e32 v41, 0x2de8, v23
	v_fma_f16 v38, v22, s1, -v38
	v_add_f16_e32 v37, v37, v43
	v_fma_f16 v43, v16, s0, v41
	v_add_f16_e32 v38, v38, v40
	v_fma_f16 v40, v16, s4, v41
	v_mul_f16_e32 v41, 0xb964, v17
	v_add_f16_e32 v42, v42, v44
	v_fma_f16 v44, v22, s13, v41
	v_fma_f16 v41, v22, s13, -v41
	v_add_f16_e32 v40, v40, v45
	v_mul_f16_e32 v45, 0x39e9, v23
	v_add_f16_e32 v41, v41, v46
	v_mul_f16_e32 v46, 0xb1e1, v17
	v_add_f16_e32 v43, v43, v47
	v_add_f16_e32 v44, v44, v48
	v_fma_f16 v47, v16, s14, v45
	v_fma_f16 v45, v16, s12, v45
	;; [unrolled: 1-line block ×3, first 2 shown]
	v_fma_f16 v46, v22, s28, -v46
	v_mul_f16_e32 v17, 0x3b29, v17
	v_add_f16_e32 v45, v45, v68
	v_mul_f16_e32 v68, 0xbbdd, v23
	v_add_f16_e32 v46, v46, v69
	v_fma_f16 v69, v22, s6, v17
	v_mul_f16_e32 v23, 0x3722, v23
	v_fma_f16 v17, v22, s6, -v17
	v_add_f16_e32 v47, v47, v70
	v_add_f16_e32 v48, v48, v71
	v_fma_f16 v70, v16, s29, v68
	v_fma_f16 v68, v16, s27, v68
	;; [unrolled: 1-line block ×3, first 2 shown]
	v_add_f16_e32 v17, v17, v21
	v_fma_f16 v16, v16, s7, v23
	v_add_f16_e32 v21, v13, v15
	v_sub_f16_e32 v13, v13, v15
	v_add_f16_e32 v16, v16, v20
	v_add_f16_e32 v20, v12, v14
	v_sub_f16_e32 v12, v12, v14
	v_mul_f16_e32 v14, 0xb836, v13
	v_fma_f16 v15, v20, s25, v14
	v_add_f16_e32 v15, v15, v19
	v_mul_f16_e32 v19, 0xbacd, v21
	v_fma_f16 v14, v20, s25, -v14
	v_fma_f16 v22, v12, s26, v19
	v_add_f16_e32 v14, v14, v18
	v_fma_f16 v18, v12, s24, v19
	v_mul_f16_e32 v19, 0x3b29, v13
	v_add_f16_e32 v18, v18, v24
	v_fma_f16 v23, v20, s6, v19
	v_mul_f16_e32 v24, 0x3722, v21
	v_fma_f16 v19, v20, s6, -v19
	v_add_f16_e32 v22, v22, v25
	v_fma_f16 v25, v12, s5, v24
	v_add_f16_e32 v19, v19, v26
	v_fma_f16 v24, v12, s7, v24
	v_mul_f16_e32 v26, 0xbbf7, v13
	v_add_f16_e32 v23, v23, v27
	v_add_f16_e32 v24, v24, v29
	v_fma_f16 v27, v20, s1, v26
	v_mul_f16_e32 v29, 0x2de8, v21
	v_fma_f16 v26, v20, s1, -v26
	v_add_f16_e32 v25, v25, v31
	v_fma_f16 v31, v12, s4, v29
	v_add_f16_e32 v26, v26, v30
	v_fma_f16 v29, v12, s0, v29
	v_mul_f16_e32 v30, 0x3a62, v13
	v_add_f16_e32 v27, v27, v32
	;; [unrolled: 10-line block ×5, first 2 shown]
	v_fma_f16 v44, v20, s13, v42
	v_fma_f16 v42, v20, s13, -v42
	v_mul_f16_e32 v13, 0xbbb2, v13
	v_add_f16_e32 v41, v41, v45
	v_mul_f16_e32 v45, 0x39e9, v21
	v_add_f16_e32 v42, v42, v46
	v_fma_f16 v46, v20, s19, v13
	v_mul_f16_e32 v21, 0xb461, v21
	v_fma_f16 v13, v20, s19, -v13
	v_add_f16_e32 v43, v43, v47
	v_add_f16_e32 v44, v44, v48
	v_fma_f16 v47, v12, s12, v45
	v_fma_f16 v45, v12, s14, v45
	;; [unrolled: 1-line block ×3, first 2 shown]
	v_add_f16_e32 v13, v13, v17
	v_fma_f16 v12, v12, s15, v21
	v_add_f16_e32 v17, v9, v11
	v_sub_f16_e32 v9, v9, v11
	v_add_f16_e32 v12, v12, v16
	v_add_f16_e32 v16, v8, v10
	v_sub_f16_e32 v8, v8, v10
	v_mul_f16_e32 v10, 0xb1e1, v9
	v_fma_f16 v11, v16, s28, v10
	v_add_f16_e32 v11, v11, v15
	v_mul_f16_e32 v15, 0xbbdd, v17
	v_fma_f16 v10, v16, s28, -v10
	v_fma_f16 v20, v8, s29, v15
	v_add_f16_e32 v10, v10, v14
	v_fma_f16 v14, v8, s27, v15
	v_mul_f16_e32 v15, 0x35c8, v9
	v_add_f16_e32 v14, v14, v18
	v_fma_f16 v18, v16, s17, v15
	v_mul_f16_e32 v21, 0x3b76, v17
	v_fma_f16 v15, v16, s17, -v15
	v_add_f16_e32 v15, v15, v19
	v_fma_f16 v19, v8, s18, v21
	v_add_f16_e32 v20, v20, v22
	v_fma_f16 v22, v8, s16, v21
	v_add_f16_e32 v19, v19, v24
	v_mul_f16_e32 v21, 0xb836, v9
	v_mul_f16_e32 v24, 0xbacd, v17
	v_add_f16_e32 v18, v18, v23
	v_add_f16_e32 v22, v22, v25
	v_fma_f16 v23, v16, s25, v21
	v_fma_f16 v25, v8, s26, v24
	v_fma_f16 v21, v16, s25, -v21
	v_fma_f16 v24, v8, s24, v24
	v_add_f16_e32 v21, v21, v26
	v_add_f16_e32 v24, v24, v29
	v_mul_f16_e32 v26, 0x3964, v9
	v_mul_f16_e32 v29, 0x39e9, v17
	v_add_f16_e32 v23, v23, v27
	v_add_f16_e32 v25, v25, v31
	v_fma_f16 v27, v16, s13, v26
	v_fma_f16 v31, v8, s12, v29
	v_fma_f16 v26, v16, s13, -v26
	v_fma_f16 v29, v8, s14, v29
	v_add_f16_e32 v86, v86, v88
	v_add_f16_e32 v26, v26, v30
	;; [unrolled: 1-line block ×3, first 2 shown]
	v_mul_f16_e32 v30, 0xba62, v9
	v_mul_f16_e32 v33, 0xb8d2, v17
	v_add_f16_e32 v85, v85, v89
	v_add_f16_e32 v87, v87, v90
	;; [unrolled: 1-line block ×5, first 2 shown]
	v_fma_f16 v32, v16, s22, v30
	v_fma_f16 v35, v8, s23, v33
	v_fma_f16 v30, v16, s22, -v30
	v_fma_f16 v33, v8, s21, v33
	v_add_f16_e32 v81, v81, v85
	v_add_f16_e32 v83, v83, v87
	;; [unrolled: 1-line block ×5, first 2 shown]
	v_mul_f16_e32 v34, 0x3b29, v9
	v_mul_f16_e32 v37, 0x3722, v17
	v_add_f16_e32 v76, v76, v81
	v_add_f16_e32 v78, v78, v83
	;; [unrolled: 1-line block ×5, first 2 shown]
	v_fma_f16 v36, v16, s6, v34
	v_fma_f16 v39, v8, s5, v37
	v_fma_f16 v34, v16, s6, -v34
	v_fma_f16 v37, v8, s7, v37
	v_add_f16_e32 v73, v73, v76
	v_add_f16_e32 v75, v75, v78
	;; [unrolled: 1-line block ×5, first 2 shown]
	v_mul_f16_e32 v38, 0xbbb2, v9
	v_mul_f16_e32 v41, 0xb461, v17
	v_pack_b32_f16 v11, v11, v20
	v_add_f16_e32 v69, v69, v73
	v_add_f16_e32 v71, v71, v75
	;; [unrolled: 1-line block ×5, first 2 shown]
	v_fma_f16 v40, v16, s19, v38
	v_fma_f16 v43, v8, s20, v41
	v_fma_f16 v38, v16, s19, -v38
	v_mul_f16_e32 v9, 0x3bf7, v9
	v_mul_f16_e32 v17, 0x2de8, v17
	ds_write2_b32 v49, v3, v11 offset1:119
	v_pack_b32_f16 v3, v18, v22
	v_pack_b32_f16 v11, v23, v25
	v_add_f16_e32 v68, v68, v72
	v_add_f16_e32 v46, v46, v69
	;; [unrolled: 1-line block ×6, first 2 shown]
	v_fma_f16 v41, v8, s15, v41
	v_fma_f16 v42, v16, s1, v9
	;; [unrolled: 1-line block ×3, first 2 shown]
	v_fma_f16 v9, v16, s1, -v9
	v_fma_f16 v8, v8, s4, v17
	ds_write2_b32 v7, v3, v11 offset0:110 offset1:229
	v_pack_b32_f16 v3, v27, v31
	v_pack_b32_f16 v11, v32, v35
	v_add_f16_e32 v45, v45, v68
	v_add_f16_e32 v42, v42, v46
	;; [unrolled: 1-line block ×5, first 2 shown]
	ds_write2_b32 v6, v3, v11 offset0:92 offset1:211
	v_pack_b32_f16 v3, v36, v39
	v_pack_b32_f16 v11, v40, v43
	v_add_f16_e32 v41, v41, v45
	ds_write2_b32 v5, v3, v11 offset0:74 offset1:193
	v_pack_b32_f16 v3, v42, v44
	v_pack_b32_f16 v8, v9, v8
	ds_write2_b32 v4, v3, v8 offset0:56 offset1:175
	v_pack_b32_f16 v3, v38, v41
	v_pack_b32_f16 v8, v34, v37
	;; [unrolled: 3-line block ×4, first 2 shown]
	ds_write2_b32 v0, v3, v8 offset0:130 offset1:249
	v_pack_b32_f16 v3, v10, v14
	ds_write_b32 v49, v3 offset:7616
	s_waitcnt lgkmcnt(0)
	s_barrier
	ds_read2_b32 v[8:9], v49 offset1:119
	s_mov_b32 s4, 0x2e50bc4c
	s_mov_b32 s5, 0x3f40329e
	v_mad_u64_u32 v[10:11], s[0:1], s10, v28, 0
	s_waitcnt lgkmcnt(0)
	v_lshrrev_b32_e32 v16, 16, v8
	v_mul_f16_sdwa v3, v67, v16 dst_sel:DWORD dst_unused:UNUSED_PAD src0_sel:WORD_1 src1_sel:DWORD
	v_fma_f16 v3, v67, v8, v3
	v_cvt_f32_f16_e32 v3, v3
	s_movk_i32 s6, 0x1ff
	s_movk_i32 s7, 0xffe
	v_mul_f16_sdwa v8, v67, v8 dst_sel:DWORD dst_unused:UNUSED_PAD src0_sel:WORD_1 src1_sel:DWORD
	v_cvt_f64_f32_e32 v[12:13], v3
	v_mov_b32_e32 v3, v11
	v_mad_u64_u32 v[14:15], s[0:1], s11, v28, v[3:4]
	v_mul_f64 v[12:13], v[12:13], s[4:5]
	v_fma_f16 v8, v67, v16, -v8
	v_mov_b32_e32 v11, v14
	v_cvt_f32_f16_e32 v8, v8
	s_movk_i32 s10, 0x40f
	s_mov_b32 s11, 0x8000
	v_lshlrev_b64 v[10:11], 2, v[10:11]
	v_and_or_b32 v3, v13, s6, v12
	v_cmp_ne_u32_e32 vcc, 0, v3
	v_cndmask_b32_e64 v3, 0, 1, vcc
	v_lshrrev_b32_e32 v12, 8, v13
	v_bfe_u32 v14, v13, 20, 11
	v_and_or_b32 v12, v12, s7, v3
	v_sub_u32_e32 v15, 0x3f1, v14
	v_or_b32_e32 v3, 0x1000, v12
	v_med3_i32 v15, v15, 0, 13
	v_lshrrev_b32_e32 v17, v15, v3
	v_lshlrev_b32_e32 v15, v15, v17
	v_cmp_ne_u32_e32 vcc, v15, v3
	v_cndmask_b32_e64 v3, 0, 1, vcc
	v_or_b32_e32 v3, v17, v3
	v_add_u32_e32 v17, 0xfffffc10, v14
	v_lshl_or_b32 v14, v17, 12, v12
	v_cmp_gt_i32_e32 vcc, 1, v17
	v_cndmask_b32_e32 v3, v14, v3, vcc
	v_and_b32_e32 v14, 7, v3
	v_cmp_lt_i32_e32 vcc, 5, v14
	v_cmp_eq_u32_e64 s[0:1], 3, v14
	v_cvt_f64_f32_e32 v[14:15], v8
	v_lshrrev_b32_e32 v3, 2, v3
	s_or_b64 vcc, s[0:1], vcc
	v_addc_co_u32_e32 v16, vcc, 0, v3, vcc
	v_mul_f64 v[14:15], v[14:15], s[4:5]
	v_mov_b32_e32 v3, 0x7c00
	v_cmp_gt_i32_e32 vcc, 31, v17
	v_cndmask_b32_e32 v8, v3, v16, vcc
	v_cmp_ne_u32_e32 vcc, 0, v12
	v_cndmask_b32_e64 v12, 0, 1, vcc
	v_lshl_or_b32 v12, v12, 9, v3
	v_cmp_eq_u32_e32 vcc, s10, v17
	v_cndmask_b32_e32 v8, v8, v12, vcc
	v_lshrrev_b32_e32 v12, 16, v13
	v_and_or_b32 v16, v12, s11, v8
	v_and_or_b32 v8, v15, s6, v14
	v_cmp_ne_u32_e32 vcc, 0, v8
	v_cndmask_b32_e64 v8, 0, 1, vcc
	v_lshrrev_b32_e32 v12, 8, v15
	v_bfe_u32 v13, v15, 20, 11
	v_and_or_b32 v8, v12, s7, v8
	v_sub_u32_e32 v14, 0x3f1, v13
	v_or_b32_e32 v12, 0x1000, v8
	v_med3_i32 v14, v14, 0, 13
	v_lshrrev_b32_e32 v17, v14, v12
	v_lshlrev_b32_e32 v14, v14, v17
	v_cmp_ne_u32_e32 vcc, v14, v12
	v_cndmask_b32_e64 v12, 0, 1, vcc
	v_add_u32_e32 v14, 0xfffffc10, v13
	v_or_b32_e32 v12, v17, v12
	v_lshl_or_b32 v13, v14, 12, v8
	v_cmp_gt_i32_e32 vcc, 1, v14
	v_cndmask_b32_e32 v12, v13, v12, vcc
	v_and_b32_e32 v13, 7, v12
	v_cmp_lt_i32_e32 vcc, 5, v13
	v_cmp_eq_u32_e64 s[0:1], 3, v13
	v_lshrrev_b32_e32 v12, 2, v12
	s_or_b64 vcc, s[0:1], vcc
	v_addc_co_u32_e32 v12, vcc, 0, v12, vcc
	v_cmp_gt_i32_e32 vcc, 31, v14
	v_cndmask_b32_e32 v17, v3, v12, vcc
	v_mad_u64_u32 v[12:13], s[0:1], s8, v66, 0
	v_cmp_ne_u32_e32 vcc, 0, v8
	v_cndmask_b32_e64 v8, 0, 1, vcc
	v_lshl_or_b32 v8, v8, 9, v3
	v_cmp_eq_u32_e32 vcc, s10, v14
	v_cndmask_b32_e32 v17, v17, v8, vcc
	v_mov_b32_e32 v8, v13
	v_mad_u64_u32 v[13:14], s[0:1], s9, v66, v[8:9]
	v_lshrrev_b32_e32 v8, 16, v9
	v_mul_f16_sdwa v14, v65, v8 dst_sel:DWORD dst_unused:UNUSED_PAD src0_sel:WORD_1 src1_sel:DWORD
	v_fma_f16 v14, v65, v9, v14
	v_cvt_f32_f16_e32 v14, v14
	v_lshrrev_b32_e32 v15, 16, v15
	v_and_or_b32 v17, v15, s11, v17
	v_and_b32_e32 v16, 0xffff, v16
	v_cvt_f64_f32_e32 v[14:15], v14
	v_lshl_or_b32 v16, v17, 16, v16
	v_mov_b32_e32 v17, s3
	v_add_co_u32_e32 v18, vcc, s2, v10
	v_mul_f64 v[14:15], v[14:15], s[4:5]
	v_addc_co_u32_e32 v17, vcc, v17, v11, vcc
	v_lshlrev_b64 v[10:11], 2, v[12:13]
	v_mul_f16_sdwa v9, v65, v9 dst_sel:DWORD dst_unused:UNUSED_PAD src0_sel:WORD_1 src1_sel:DWORD
	v_add_co_u32_e32 v10, vcc, v18, v10
	v_addc_co_u32_e32 v11, vcc, v17, v11, vcc
	v_and_or_b32 v12, v15, s6, v14
	v_cmp_ne_u32_e32 vcc, 0, v12
	v_fma_f16 v8, v65, v8, -v9
	v_cndmask_b32_e64 v12, 0, 1, vcc
	v_lshrrev_b32_e32 v13, 8, v15
	v_bfe_u32 v14, v15, 20, 11
	v_cvt_f32_f16_e32 v8, v8
	global_store_dword v[10:11], v16, off
	v_and_or_b32 v12, v13, s7, v12
	v_sub_u32_e32 v16, 0x3f1, v14
	v_or_b32_e32 v13, 0x1000, v12
	v_med3_i32 v16, v16, 0, 13
	v_lshrrev_b32_e32 v17, v16, v13
	v_lshlrev_b32_e32 v16, v16, v17
	v_cvt_f64_f32_e32 v[8:9], v8
	v_cmp_ne_u32_e32 vcc, v16, v13
	v_cndmask_b32_e64 v13, 0, 1, vcc
	v_add_u32_e32 v14, 0xfffffc10, v14
	v_or_b32_e32 v13, v17, v13
	v_lshl_or_b32 v16, v14, 12, v12
	v_cmp_gt_i32_e32 vcc, 1, v14
	v_cndmask_b32_e32 v13, v16, v13, vcc
	v_mul_f64 v[8:9], v[8:9], s[4:5]
	v_and_b32_e32 v16, 7, v13
	v_cmp_lt_i32_e32 vcc, 5, v16
	v_cmp_eq_u32_e64 s[0:1], 3, v16
	v_lshrrev_b32_e32 v13, 2, v13
	s_or_b64 vcc, s[0:1], vcc
	v_addc_co_u32_e32 v13, vcc, 0, v13, vcc
	v_cmp_gt_i32_e32 vcc, 31, v14
	v_cndmask_b32_e32 v13, v3, v13, vcc
	v_cmp_ne_u32_e32 vcc, 0, v12
	v_cndmask_b32_e64 v12, 0, 1, vcc
	v_lshl_or_b32 v12, v12, 9, v3
	v_cmp_eq_u32_e32 vcc, s10, v14
	v_and_or_b32 v8, v9, s6, v8
	v_cndmask_b32_e32 v12, v13, v12, vcc
	v_lshrrev_b32_e32 v13, 16, v15
	v_cmp_ne_u32_e32 vcc, 0, v8
	v_and_or_b32 v12, v13, s11, v12
	v_cndmask_b32_e64 v8, 0, 1, vcc
	v_lshrrev_b32_e32 v13, 8, v9
	v_bfe_u32 v14, v9, 20, 11
	v_and_or_b32 v8, v13, s7, v8
	v_sub_u32_e32 v15, 0x3f1, v14
	v_or_b32_e32 v13, 0x1000, v8
	v_med3_i32 v15, v15, 0, 13
	v_lshrrev_b32_e32 v16, v15, v13
	v_lshlrev_b32_e32 v15, v15, v16
	v_cmp_ne_u32_e32 vcc, v15, v13
	v_cndmask_b32_e64 v13, 0, 1, vcc
	v_add_u32_e32 v14, 0xfffffc10, v14
	v_or_b32_e32 v13, v16, v13
	v_lshl_or_b32 v15, v14, 12, v8
	v_cmp_gt_i32_e32 vcc, 1, v14
	v_cndmask_b32_e32 v13, v15, v13, vcc
	v_and_b32_e32 v15, 7, v13
	v_cmp_lt_i32_e32 vcc, 5, v15
	v_cmp_eq_u32_e64 s[0:1], 3, v15
	v_lshrrev_b32_e32 v13, 2, v13
	s_or_b64 vcc, s[0:1], vcc
	v_addc_co_u32_e32 v13, vcc, 0, v13, vcc
	v_cmp_gt_i32_e32 vcc, 31, v14
	v_cndmask_b32_e32 v13, v3, v13, vcc
	v_cmp_ne_u32_e32 vcc, 0, v8
	ds_read2_b32 v[7:8], v7 offset0:110 offset1:229
	v_cndmask_b32_e64 v15, 0, 1, vcc
	v_lshl_or_b32 v15, v15, 9, v3
	v_cmp_eq_u32_e32 vcc, s10, v14
	v_cndmask_b32_e32 v13, v13, v15, vcc
	s_waitcnt lgkmcnt(0)
	v_lshrrev_b32_e32 v14, 16, v7
	v_mul_f16_sdwa v15, v64, v14 dst_sel:DWORD dst_unused:UNUSED_PAD src0_sel:WORD_1 src1_sel:DWORD
	v_fma_f16 v15, v64, v7, v15
	v_cvt_f32_f16_e32 v15, v15
	v_lshrrev_b32_e32 v9, 16, v9
	v_and_or_b32 v9, v9, s11, v13
	v_and_b32_e32 v12, 0xffff, v12
	v_lshl_or_b32 v16, v9, 16, v12
	v_cvt_f64_f32_e32 v[12:13], v15
	s_mul_i32 s0, s9, 0x1dc
	s_mul_hi_u32 s2, s8, 0x1dc
	s_add_i32 s2, s2, s0
	v_mul_f64 v[12:13], v[12:13], s[4:5]
	s_mul_i32 s3, s8, 0x1dc
	v_mov_b32_e32 v15, s2
	v_add_co_u32_e32 v9, vcc, s3, v10
	v_addc_co_u32_e32 v10, vcc, v11, v15, vcc
	global_store_dword v[9:10], v16, off
	v_and_or_b32 v11, v13, s6, v12
	v_cmp_ne_u32_e32 vcc, 0, v11
	v_cndmask_b32_e64 v11, 0, 1, vcc
	v_lshrrev_b32_e32 v12, 8, v13
	v_and_or_b32 v15, v12, s7, v11
	v_bfe_u32 v12, v13, 20, 11
	v_sub_u32_e32 v16, 0x3f1, v12
	v_or_b32_e32 v11, 0x1000, v15
	v_med3_i32 v16, v16, 0, 13
	v_lshrrev_b32_e32 v17, v16, v11
	v_lshlrev_b32_e32 v16, v16, v17
	v_mul_f16_sdwa v7, v64, v7 dst_sel:DWORD dst_unused:UNUSED_PAD src0_sel:WORD_1 src1_sel:DWORD
	v_cmp_ne_u32_e32 vcc, v16, v11
	v_fma_f16 v7, v64, v14, -v7
	v_cndmask_b32_e64 v11, 0, 1, vcc
	v_add_u32_e32 v16, 0xfffffc10, v12
	v_cvt_f32_f16_e32 v7, v7
	v_or_b32_e32 v11, v17, v11
	v_lshl_or_b32 v12, v16, 12, v15
	v_cmp_gt_i32_e32 vcc, 1, v16
	v_cndmask_b32_e32 v11, v12, v11, vcc
	v_and_b32_e32 v12, 7, v11
	v_cmp_lt_i32_e32 vcc, 5, v12
	v_cmp_eq_u32_e64 s[0:1], 3, v12
	v_lshrrev_b32_e32 v14, 2, v11
	v_cvt_f64_f32_e32 v[11:12], v7
	s_or_b64 vcc, s[0:1], vcc
	v_addc_co_u32_e32 v7, vcc, 0, v14, vcc
	v_mul_f64 v[11:12], v[11:12], s[4:5]
	v_cmp_gt_i32_e32 vcc, 31, v16
	v_cndmask_b32_e32 v7, v3, v7, vcc
	v_cmp_ne_u32_e32 vcc, 0, v15
	v_cndmask_b32_e64 v14, 0, 1, vcc
	v_lshl_or_b32 v14, v14, 9, v3
	v_cmp_eq_u32_e32 vcc, s10, v16
	v_cndmask_b32_e32 v7, v7, v14, vcc
	v_and_or_b32 v11, v12, s6, v11
	v_lshrrev_b32_e32 v13, 16, v13
	v_cmp_ne_u32_e32 vcc, 0, v11
	v_and_or_b32 v7, v13, s11, v7
	v_cndmask_b32_e64 v11, 0, 1, vcc
	v_lshrrev_b32_e32 v13, 8, v12
	v_bfe_u32 v14, v12, 20, 11
	v_and_or_b32 v11, v13, s7, v11
	v_sub_u32_e32 v15, 0x3f1, v14
	v_or_b32_e32 v13, 0x1000, v11
	v_med3_i32 v15, v15, 0, 13
	v_lshrrev_b32_e32 v16, v15, v13
	v_lshlrev_b32_e32 v15, v15, v16
	v_cmp_ne_u32_e32 vcc, v15, v13
	v_cndmask_b32_e64 v13, 0, 1, vcc
	v_add_u32_e32 v14, 0xfffffc10, v14
	v_or_b32_e32 v13, v16, v13
	v_lshl_or_b32 v15, v14, 12, v11
	v_cmp_gt_i32_e32 vcc, 1, v14
	v_cndmask_b32_e32 v13, v15, v13, vcc
	v_and_b32_e32 v15, 7, v13
	v_cmp_lt_i32_e32 vcc, 5, v15
	v_cmp_eq_u32_e64 s[0:1], 3, v15
	v_lshrrev_b32_e32 v15, 16, v8
	v_lshrrev_b32_e32 v13, 2, v13
	s_or_b64 vcc, s[0:1], vcc
	v_mul_f16_sdwa v16, v63, v15 dst_sel:DWORD dst_unused:UNUSED_PAD src0_sel:WORD_1 src1_sel:DWORD
	v_addc_co_u32_e32 v13, vcc, 0, v13, vcc
	v_fma_f16 v16, v63, v8, v16
	v_cmp_gt_i32_e32 vcc, 31, v14
	v_cvt_f32_f16_e32 v16, v16
	v_cndmask_b32_e32 v13, v3, v13, vcc
	v_cmp_ne_u32_e32 vcc, 0, v11
	v_cndmask_b32_e64 v11, 0, 1, vcc
	v_lshl_or_b32 v11, v11, 9, v3
	v_cmp_eq_u32_e32 vcc, s10, v14
	v_cndmask_b32_e32 v11, v13, v11, vcc
	v_cvt_f64_f32_e32 v[13:14], v16
	v_lshrrev_b32_e32 v12, 16, v12
	v_and_or_b32 v16, v12, s11, v11
	v_and_b32_e32 v7, 0xffff, v7
	v_mul_f64 v[11:12], v[13:14], s[4:5]
	v_mov_b32_e32 v13, s2
	v_add_co_u32_e32 v9, vcc, s3, v9
	v_lshl_or_b32 v7, v16, 16, v7
	v_addc_co_u32_e32 v10, vcc, v10, v13, vcc
	global_store_dword v[9:10], v7, off
	v_and_or_b32 v7, v12, s6, v11
	v_cmp_ne_u32_e32 vcc, 0, v7
	v_cndmask_b32_e64 v7, 0, 1, vcc
	v_lshrrev_b32_e32 v11, 8, v12
	v_bfe_u32 v13, v12, 20, 11
	v_and_or_b32 v11, v11, s7, v7
	v_sub_u32_e32 v14, 0x3f1, v13
	v_or_b32_e32 v7, 0x1000, v11
	v_med3_i32 v14, v14, 0, 13
	v_lshrrev_b32_e32 v16, v14, v7
	v_lshlrev_b32_e32 v14, v14, v16
	v_mul_f16_sdwa v8, v63, v8 dst_sel:DWORD dst_unused:UNUSED_PAD src0_sel:WORD_1 src1_sel:DWORD
	v_cmp_ne_u32_e32 vcc, v14, v7
	v_fma_f16 v8, v63, v15, -v8
	v_cndmask_b32_e64 v7, 0, 1, vcc
	v_add_u32_e32 v13, 0xfffffc10, v13
	v_cvt_f32_f16_e32 v8, v8
	v_or_b32_e32 v7, v16, v7
	v_lshl_or_b32 v14, v13, 12, v11
	v_cmp_gt_i32_e32 vcc, 1, v13
	v_cndmask_b32_e32 v7, v14, v7, vcc
	v_and_b32_e32 v14, 7, v7
	v_cmp_lt_i32_e32 vcc, 5, v14
	v_cmp_eq_u32_e64 s[0:1], 3, v14
	v_lshrrev_b32_e32 v14, 2, v7
	v_cvt_f64_f32_e32 v[7:8], v8
	s_or_b64 vcc, s[0:1], vcc
	v_addc_co_u32_e32 v14, vcc, 0, v14, vcc
	v_mul_f64 v[7:8], v[7:8], s[4:5]
	v_cmp_gt_i32_e32 vcc, 31, v13
	v_cndmask_b32_e32 v14, v3, v14, vcc
	v_cmp_ne_u32_e32 vcc, 0, v11
	v_cndmask_b32_e64 v11, 0, 1, vcc
	v_lshl_or_b32 v11, v11, 9, v3
	v_cmp_eq_u32_e32 vcc, s10, v13
	v_cndmask_b32_e32 v11, v14, v11, vcc
	v_and_or_b32 v7, v8, s6, v7
	v_lshrrev_b32_e32 v12, 16, v12
	v_cmp_ne_u32_e32 vcc, 0, v7
	v_and_or_b32 v13, v12, s11, v11
	v_cndmask_b32_e64 v7, 0, 1, vcc
	v_lshrrev_b32_e32 v11, 8, v8
	v_bfe_u32 v12, v8, 20, 11
	v_and_or_b32 v11, v11, s7, v7
	v_sub_u32_e32 v14, 0x3f1, v12
	v_or_b32_e32 v7, 0x1000, v11
	v_med3_i32 v14, v14, 0, 13
	v_lshrrev_b32_e32 v15, v14, v7
	v_lshlrev_b32_e32 v14, v14, v15
	v_cmp_ne_u32_e32 vcc, v14, v7
	v_cndmask_b32_e64 v7, 0, 1, vcc
	v_add_u32_e32 v12, 0xfffffc10, v12
	v_or_b32_e32 v7, v15, v7
	v_lshl_or_b32 v14, v12, 12, v11
	v_cmp_gt_i32_e32 vcc, 1, v12
	v_cndmask_b32_e32 v7, v14, v7, vcc
	v_and_b32_e32 v14, 7, v7
	v_cmp_lt_i32_e32 vcc, 5, v14
	v_cmp_eq_u32_e64 s[0:1], 3, v14
	v_lshrrev_b32_e32 v7, 2, v7
	s_or_b64 vcc, s[0:1], vcc
	v_addc_co_u32_e32 v14, vcc, 0, v7, vcc
	ds_read2_b32 v[6:7], v6 offset0:92 offset1:211
	v_cmp_gt_i32_e32 vcc, 31, v12
	v_cndmask_b32_e32 v14, v3, v14, vcc
	v_cmp_ne_u32_e32 vcc, 0, v11
	v_cndmask_b32_e64 v11, 0, 1, vcc
	s_waitcnt lgkmcnt(0)
	v_lshrrev_b32_e32 v15, 16, v6
	v_mul_f16_sdwa v16, v62, v15 dst_sel:DWORD dst_unused:UNUSED_PAD src0_sel:WORD_1 src1_sel:DWORD
	v_fma_f16 v16, v62, v6, v16
	v_cvt_f32_f16_e32 v16, v16
	v_lshl_or_b32 v11, v11, 9, v3
	v_cmp_eq_u32_e32 vcc, s10, v12
	v_cndmask_b32_e32 v14, v14, v11, vcc
	v_cvt_f64_f32_e32 v[11:12], v16
	v_lshrrev_b32_e32 v8, 16, v8
	v_and_or_b32 v8, v8, s11, v14
	v_and_b32_e32 v13, 0xffff, v13
	v_mul_f64 v[11:12], v[11:12], s[4:5]
	v_lshl_or_b32 v13, v8, 16, v13
	v_mov_b32_e32 v14, s2
	v_add_co_u32_e32 v8, vcc, s3, v9
	v_addc_co_u32_e32 v9, vcc, v10, v14, vcc
	global_store_dword v[8:9], v13, off
	v_and_or_b32 v10, v12, s6, v11
	v_cmp_ne_u32_e32 vcc, 0, v10
	v_cndmask_b32_e64 v10, 0, 1, vcc
	v_lshrrev_b32_e32 v11, 8, v12
	v_and_or_b32 v13, v11, s7, v10
	v_bfe_u32 v11, v12, 20, 11
	v_sub_u32_e32 v14, 0x3f1, v11
	v_or_b32_e32 v10, 0x1000, v13
	v_med3_i32 v14, v14, 0, 13
	v_lshrrev_b32_e32 v16, v14, v10
	v_lshlrev_b32_e32 v14, v14, v16
	v_mul_f16_sdwa v6, v62, v6 dst_sel:DWORD dst_unused:UNUSED_PAD src0_sel:WORD_1 src1_sel:DWORD
	v_cmp_ne_u32_e32 vcc, v14, v10
	v_fma_f16 v6, v62, v15, -v6
	v_cndmask_b32_e64 v10, 0, 1, vcc
	v_add_u32_e32 v14, 0xfffffc10, v11
	v_cvt_f32_f16_e32 v6, v6
	v_or_b32_e32 v10, v16, v10
	v_lshl_or_b32 v11, v14, 12, v13
	v_cmp_gt_i32_e32 vcc, 1, v14
	v_cndmask_b32_e32 v10, v11, v10, vcc
	v_and_b32_e32 v11, 7, v10
	v_cmp_lt_i32_e32 vcc, 5, v11
	v_cmp_eq_u32_e64 s[0:1], 3, v11
	v_lshrrev_b32_e32 v15, 2, v10
	v_cvt_f64_f32_e32 v[10:11], v6
	s_or_b64 vcc, s[0:1], vcc
	v_addc_co_u32_e32 v6, vcc, 0, v15, vcc
	v_mul_f64 v[10:11], v[10:11], s[4:5]
	v_cmp_gt_i32_e32 vcc, 31, v14
	v_cndmask_b32_e32 v6, v3, v6, vcc
	v_cmp_ne_u32_e32 vcc, 0, v13
	v_cndmask_b32_e64 v13, 0, 1, vcc
	v_lshl_or_b32 v13, v13, 9, v3
	v_cmp_eq_u32_e32 vcc, s10, v14
	v_cndmask_b32_e32 v6, v6, v13, vcc
	v_and_or_b32 v10, v11, s6, v10
	v_lshrrev_b32_e32 v12, 16, v12
	v_cmp_ne_u32_e32 vcc, 0, v10
	v_and_or_b32 v6, v12, s11, v6
	v_cndmask_b32_e64 v10, 0, 1, vcc
	v_lshrrev_b32_e32 v12, 8, v11
	v_bfe_u32 v13, v11, 20, 11
	v_and_or_b32 v10, v12, s7, v10
	v_sub_u32_e32 v14, 0x3f1, v13
	v_or_b32_e32 v12, 0x1000, v10
	v_med3_i32 v14, v14, 0, 13
	v_lshrrev_b32_e32 v15, v14, v12
	v_lshlrev_b32_e32 v14, v14, v15
	v_cmp_ne_u32_e32 vcc, v14, v12
	v_cndmask_b32_e64 v12, 0, 1, vcc
	v_add_u32_e32 v13, 0xfffffc10, v13
	v_or_b32_e32 v12, v15, v12
	v_lshl_or_b32 v14, v13, 12, v10
	v_cmp_gt_i32_e32 vcc, 1, v13
	v_cndmask_b32_e32 v12, v14, v12, vcc
	v_and_b32_e32 v14, 7, v12
	v_cmp_lt_i32_e32 vcc, 5, v14
	v_cmp_eq_u32_e64 s[0:1], 3, v14
	v_lshrrev_b32_e32 v14, 16, v7
	v_lshrrev_b32_e32 v12, 2, v12
	s_or_b64 vcc, s[0:1], vcc
	v_mul_f16_sdwa v15, v61, v14 dst_sel:DWORD dst_unused:UNUSED_PAD src0_sel:WORD_1 src1_sel:DWORD
	v_addc_co_u32_e32 v12, vcc, 0, v12, vcc
	v_fma_f16 v15, v61, v7, v15
	v_cmp_gt_i32_e32 vcc, 31, v13
	v_cvt_f32_f16_e32 v15, v15
	v_cndmask_b32_e32 v12, v3, v12, vcc
	v_cmp_ne_u32_e32 vcc, 0, v10
	v_cndmask_b32_e64 v10, 0, 1, vcc
	v_lshl_or_b32 v10, v10, 9, v3
	v_cmp_eq_u32_e32 vcc, s10, v13
	v_cndmask_b32_e32 v10, v12, v10, vcc
	v_cvt_f64_f32_e32 v[12:13], v15
	v_lshrrev_b32_e32 v11, 16, v11
	v_and_or_b32 v15, v11, s11, v10
	v_and_b32_e32 v6, 0xffff, v6
	v_mul_f64 v[10:11], v[12:13], s[4:5]
	v_mov_b32_e32 v12, s2
	v_add_co_u32_e32 v8, vcc, s3, v8
	v_lshl_or_b32 v6, v15, 16, v6
	v_addc_co_u32_e32 v9, vcc, v9, v12, vcc
	global_store_dword v[8:9], v6, off
	v_and_or_b32 v6, v11, s6, v10
	v_cmp_ne_u32_e32 vcc, 0, v6
	v_cndmask_b32_e64 v6, 0, 1, vcc
	v_lshrrev_b32_e32 v10, 8, v11
	v_bfe_u32 v12, v11, 20, 11
	v_and_or_b32 v10, v10, s7, v6
	v_sub_u32_e32 v13, 0x3f1, v12
	v_or_b32_e32 v6, 0x1000, v10
	v_med3_i32 v13, v13, 0, 13
	v_lshrrev_b32_e32 v15, v13, v6
	v_lshlrev_b32_e32 v13, v13, v15
	v_mul_f16_sdwa v7, v61, v7 dst_sel:DWORD dst_unused:UNUSED_PAD src0_sel:WORD_1 src1_sel:DWORD
	v_cmp_ne_u32_e32 vcc, v13, v6
	v_fma_f16 v7, v61, v14, -v7
	v_cndmask_b32_e64 v6, 0, 1, vcc
	v_add_u32_e32 v12, 0xfffffc10, v12
	v_cvt_f32_f16_e32 v7, v7
	v_or_b32_e32 v6, v15, v6
	v_lshl_or_b32 v13, v12, 12, v10
	v_cmp_gt_i32_e32 vcc, 1, v12
	v_cndmask_b32_e32 v6, v13, v6, vcc
	v_and_b32_e32 v13, 7, v6
	v_cmp_lt_i32_e32 vcc, 5, v13
	v_cmp_eq_u32_e64 s[0:1], 3, v13
	v_lshrrev_b32_e32 v13, 2, v6
	v_cvt_f64_f32_e32 v[6:7], v7
	s_or_b64 vcc, s[0:1], vcc
	v_addc_co_u32_e32 v13, vcc, 0, v13, vcc
	v_mul_f64 v[6:7], v[6:7], s[4:5]
	v_cmp_gt_i32_e32 vcc, 31, v12
	v_cndmask_b32_e32 v13, v3, v13, vcc
	v_cmp_ne_u32_e32 vcc, 0, v10
	v_cndmask_b32_e64 v10, 0, 1, vcc
	v_lshl_or_b32 v10, v10, 9, v3
	v_cmp_eq_u32_e32 vcc, s10, v12
	v_cndmask_b32_e32 v10, v13, v10, vcc
	v_and_or_b32 v6, v7, s6, v6
	v_lshrrev_b32_e32 v11, 16, v11
	v_cmp_ne_u32_e32 vcc, 0, v6
	v_and_or_b32 v12, v11, s11, v10
	v_cndmask_b32_e64 v6, 0, 1, vcc
	v_lshrrev_b32_e32 v10, 8, v7
	v_bfe_u32 v11, v7, 20, 11
	v_and_or_b32 v10, v10, s7, v6
	v_sub_u32_e32 v13, 0x3f1, v11
	v_or_b32_e32 v6, 0x1000, v10
	v_med3_i32 v13, v13, 0, 13
	v_lshrrev_b32_e32 v14, v13, v6
	v_lshlrev_b32_e32 v13, v13, v14
	v_cmp_ne_u32_e32 vcc, v13, v6
	v_cndmask_b32_e64 v6, 0, 1, vcc
	v_add_u32_e32 v11, 0xfffffc10, v11
	v_or_b32_e32 v6, v14, v6
	v_lshl_or_b32 v13, v11, 12, v10
	v_cmp_gt_i32_e32 vcc, 1, v11
	v_cndmask_b32_e32 v6, v13, v6, vcc
	v_and_b32_e32 v13, 7, v6
	v_cmp_lt_i32_e32 vcc, 5, v13
	v_cmp_eq_u32_e64 s[0:1], 3, v13
	v_lshrrev_b32_e32 v6, 2, v6
	s_or_b64 vcc, s[0:1], vcc
	v_addc_co_u32_e32 v13, vcc, 0, v6, vcc
	ds_read2_b32 v[5:6], v5 offset0:74 offset1:193
	v_cmp_gt_i32_e32 vcc, 31, v11
	v_cndmask_b32_e32 v13, v3, v13, vcc
	v_cmp_ne_u32_e32 vcc, 0, v10
	v_cndmask_b32_e64 v10, 0, 1, vcc
	s_waitcnt lgkmcnt(0)
	v_lshrrev_b32_e32 v14, 16, v5
	v_mul_f16_sdwa v15, v60, v14 dst_sel:DWORD dst_unused:UNUSED_PAD src0_sel:WORD_1 src1_sel:DWORD
	v_fma_f16 v15, v60, v5, v15
	v_cvt_f32_f16_e32 v15, v15
	v_lshl_or_b32 v10, v10, 9, v3
	v_cmp_eq_u32_e32 vcc, s10, v11
	v_cndmask_b32_e32 v13, v13, v10, vcc
	v_cvt_f64_f32_e32 v[10:11], v15
	v_lshrrev_b32_e32 v7, 16, v7
	v_and_or_b32 v7, v7, s11, v13
	v_and_b32_e32 v12, 0xffff, v12
	v_mul_f64 v[10:11], v[10:11], s[4:5]
	v_lshl_or_b32 v12, v7, 16, v12
	v_mov_b32_e32 v13, s2
	v_add_co_u32_e32 v7, vcc, s3, v8
	v_addc_co_u32_e32 v8, vcc, v9, v13, vcc
	global_store_dword v[7:8], v12, off
	v_and_or_b32 v9, v11, s6, v10
	v_cmp_ne_u32_e32 vcc, 0, v9
	v_cndmask_b32_e64 v9, 0, 1, vcc
	v_lshrrev_b32_e32 v10, 8, v11
	v_and_or_b32 v12, v10, s7, v9
	v_bfe_u32 v10, v11, 20, 11
	v_sub_u32_e32 v13, 0x3f1, v10
	v_or_b32_e32 v9, 0x1000, v12
	v_med3_i32 v13, v13, 0, 13
	v_lshrrev_b32_e32 v15, v13, v9
	v_lshlrev_b32_e32 v13, v13, v15
	v_mul_f16_sdwa v5, v60, v5 dst_sel:DWORD dst_unused:UNUSED_PAD src0_sel:WORD_1 src1_sel:DWORD
	v_cmp_ne_u32_e32 vcc, v13, v9
	v_fma_f16 v5, v60, v14, -v5
	v_cndmask_b32_e64 v9, 0, 1, vcc
	v_add_u32_e32 v13, 0xfffffc10, v10
	v_cvt_f32_f16_e32 v5, v5
	v_or_b32_e32 v9, v15, v9
	v_lshl_or_b32 v10, v13, 12, v12
	v_cmp_gt_i32_e32 vcc, 1, v13
	v_cndmask_b32_e32 v9, v10, v9, vcc
	v_and_b32_e32 v10, 7, v9
	v_cmp_lt_i32_e32 vcc, 5, v10
	v_cmp_eq_u32_e64 s[0:1], 3, v10
	v_lshrrev_b32_e32 v14, 2, v9
	v_cvt_f64_f32_e32 v[9:10], v5
	s_or_b64 vcc, s[0:1], vcc
	v_addc_co_u32_e32 v5, vcc, 0, v14, vcc
	v_mul_f64 v[9:10], v[9:10], s[4:5]
	v_cmp_gt_i32_e32 vcc, 31, v13
	v_cndmask_b32_e32 v5, v3, v5, vcc
	v_cmp_ne_u32_e32 vcc, 0, v12
	v_cndmask_b32_e64 v12, 0, 1, vcc
	v_lshl_or_b32 v12, v12, 9, v3
	v_cmp_eq_u32_e32 vcc, s10, v13
	v_cndmask_b32_e32 v5, v5, v12, vcc
	v_and_or_b32 v9, v10, s6, v9
	v_lshrrev_b32_e32 v11, 16, v11
	v_cmp_ne_u32_e32 vcc, 0, v9
	v_and_or_b32 v5, v11, s11, v5
	v_cndmask_b32_e64 v9, 0, 1, vcc
	v_lshrrev_b32_e32 v11, 8, v10
	v_bfe_u32 v12, v10, 20, 11
	v_and_or_b32 v9, v11, s7, v9
	v_sub_u32_e32 v13, 0x3f1, v12
	v_or_b32_e32 v11, 0x1000, v9
	v_med3_i32 v13, v13, 0, 13
	v_lshrrev_b32_e32 v14, v13, v11
	v_lshlrev_b32_e32 v13, v13, v14
	v_cmp_ne_u32_e32 vcc, v13, v11
	v_cndmask_b32_e64 v11, 0, 1, vcc
	v_add_u32_e32 v12, 0xfffffc10, v12
	v_or_b32_e32 v11, v14, v11
	v_lshl_or_b32 v13, v12, 12, v9
	v_cmp_gt_i32_e32 vcc, 1, v12
	v_cndmask_b32_e32 v11, v13, v11, vcc
	v_and_b32_e32 v13, 7, v11
	v_cmp_lt_i32_e32 vcc, 5, v13
	v_cmp_eq_u32_e64 s[0:1], 3, v13
	v_lshrrev_b32_e32 v13, 16, v6
	v_lshrrev_b32_e32 v11, 2, v11
	s_or_b64 vcc, s[0:1], vcc
	v_mul_f16_sdwa v14, v59, v13 dst_sel:DWORD dst_unused:UNUSED_PAD src0_sel:WORD_1 src1_sel:DWORD
	v_addc_co_u32_e32 v11, vcc, 0, v11, vcc
	v_fma_f16 v14, v59, v6, v14
	v_cmp_gt_i32_e32 vcc, 31, v12
	v_cvt_f32_f16_e32 v14, v14
	v_cndmask_b32_e32 v11, v3, v11, vcc
	v_cmp_ne_u32_e32 vcc, 0, v9
	v_cndmask_b32_e64 v9, 0, 1, vcc
	v_lshl_or_b32 v9, v9, 9, v3
	v_cmp_eq_u32_e32 vcc, s10, v12
	v_cndmask_b32_e32 v9, v11, v9, vcc
	v_cvt_f64_f32_e32 v[11:12], v14
	v_lshrrev_b32_e32 v10, 16, v10
	v_and_or_b32 v14, v10, s11, v9
	v_and_b32_e32 v5, 0xffff, v5
	v_mul_f64 v[9:10], v[11:12], s[4:5]
	v_mov_b32_e32 v11, s2
	v_add_co_u32_e32 v7, vcc, s3, v7
	v_lshl_or_b32 v5, v14, 16, v5
	v_addc_co_u32_e32 v8, vcc, v8, v11, vcc
	global_store_dword v[7:8], v5, off
	v_and_or_b32 v5, v10, s6, v9
	v_cmp_ne_u32_e32 vcc, 0, v5
	v_cndmask_b32_e64 v5, 0, 1, vcc
	v_lshrrev_b32_e32 v9, 8, v10
	v_bfe_u32 v11, v10, 20, 11
	v_and_or_b32 v9, v9, s7, v5
	v_sub_u32_e32 v12, 0x3f1, v11
	v_or_b32_e32 v5, 0x1000, v9
	v_med3_i32 v12, v12, 0, 13
	v_lshrrev_b32_e32 v14, v12, v5
	v_lshlrev_b32_e32 v12, v12, v14
	v_mul_f16_sdwa v6, v59, v6 dst_sel:DWORD dst_unused:UNUSED_PAD src0_sel:WORD_1 src1_sel:DWORD
	v_cmp_ne_u32_e32 vcc, v12, v5
	v_fma_f16 v6, v59, v13, -v6
	v_cndmask_b32_e64 v5, 0, 1, vcc
	v_add_u32_e32 v11, 0xfffffc10, v11
	v_cvt_f32_f16_e32 v6, v6
	v_or_b32_e32 v5, v14, v5
	v_lshl_or_b32 v12, v11, 12, v9
	v_cmp_gt_i32_e32 vcc, 1, v11
	v_cndmask_b32_e32 v5, v12, v5, vcc
	v_and_b32_e32 v12, 7, v5
	v_cmp_lt_i32_e32 vcc, 5, v12
	v_cmp_eq_u32_e64 s[0:1], 3, v12
	v_lshrrev_b32_e32 v12, 2, v5
	v_cvt_f64_f32_e32 v[5:6], v6
	s_or_b64 vcc, s[0:1], vcc
	v_addc_co_u32_e32 v12, vcc, 0, v12, vcc
	v_mul_f64 v[5:6], v[5:6], s[4:5]
	v_cmp_gt_i32_e32 vcc, 31, v11
	v_cndmask_b32_e32 v12, v3, v12, vcc
	v_cmp_ne_u32_e32 vcc, 0, v9
	v_cndmask_b32_e64 v9, 0, 1, vcc
	v_lshl_or_b32 v9, v9, 9, v3
	v_cmp_eq_u32_e32 vcc, s10, v11
	v_cndmask_b32_e32 v9, v12, v9, vcc
	v_and_or_b32 v5, v6, s6, v5
	v_lshrrev_b32_e32 v10, 16, v10
	v_cmp_ne_u32_e32 vcc, 0, v5
	v_and_or_b32 v11, v10, s11, v9
	v_cndmask_b32_e64 v5, 0, 1, vcc
	v_lshrrev_b32_e32 v9, 8, v6
	v_bfe_u32 v10, v6, 20, 11
	v_and_or_b32 v9, v9, s7, v5
	v_sub_u32_e32 v12, 0x3f1, v10
	v_or_b32_e32 v5, 0x1000, v9
	v_med3_i32 v12, v12, 0, 13
	v_lshrrev_b32_e32 v13, v12, v5
	v_lshlrev_b32_e32 v12, v12, v13
	v_cmp_ne_u32_e32 vcc, v12, v5
	v_cndmask_b32_e64 v5, 0, 1, vcc
	v_add_u32_e32 v10, 0xfffffc10, v10
	v_or_b32_e32 v5, v13, v5
	v_lshl_or_b32 v12, v10, 12, v9
	v_cmp_gt_i32_e32 vcc, 1, v10
	v_cndmask_b32_e32 v5, v12, v5, vcc
	v_and_b32_e32 v12, 7, v5
	v_cmp_lt_i32_e32 vcc, 5, v12
	v_cmp_eq_u32_e64 s[0:1], 3, v12
	v_lshrrev_b32_e32 v5, 2, v5
	s_or_b64 vcc, s[0:1], vcc
	v_addc_co_u32_e32 v12, vcc, 0, v5, vcc
	ds_read2_b32 v[4:5], v4 offset0:56 offset1:175
	v_cmp_gt_i32_e32 vcc, 31, v10
	v_cndmask_b32_e32 v12, v3, v12, vcc
	v_cmp_ne_u32_e32 vcc, 0, v9
	v_cndmask_b32_e64 v9, 0, 1, vcc
	s_waitcnt lgkmcnt(0)
	v_lshrrev_b32_e32 v13, 16, v4
	v_mul_f16_sdwa v14, v58, v13 dst_sel:DWORD dst_unused:UNUSED_PAD src0_sel:WORD_1 src1_sel:DWORD
	v_fma_f16 v14, v58, v4, v14
	v_cvt_f32_f16_e32 v14, v14
	v_lshl_or_b32 v9, v9, 9, v3
	v_cmp_eq_u32_e32 vcc, s10, v10
	v_cndmask_b32_e32 v12, v12, v9, vcc
	v_cvt_f64_f32_e32 v[9:10], v14
	v_lshrrev_b32_e32 v6, 16, v6
	v_and_or_b32 v6, v6, s11, v12
	v_and_b32_e32 v11, 0xffff, v11
	v_mul_f64 v[9:10], v[9:10], s[4:5]
	v_lshl_or_b32 v11, v6, 16, v11
	v_mov_b32_e32 v12, s2
	v_add_co_u32_e32 v6, vcc, s3, v7
	v_addc_co_u32_e32 v7, vcc, v8, v12, vcc
	global_store_dword v[6:7], v11, off
	v_and_or_b32 v8, v10, s6, v9
	v_cmp_ne_u32_e32 vcc, 0, v8
	v_cndmask_b32_e64 v8, 0, 1, vcc
	v_lshrrev_b32_e32 v9, 8, v10
	v_and_or_b32 v11, v9, s7, v8
	v_bfe_u32 v9, v10, 20, 11
	v_sub_u32_e32 v12, 0x3f1, v9
	v_or_b32_e32 v8, 0x1000, v11
	v_med3_i32 v12, v12, 0, 13
	v_lshrrev_b32_e32 v14, v12, v8
	v_lshlrev_b32_e32 v12, v12, v14
	v_mul_f16_sdwa v4, v58, v4 dst_sel:DWORD dst_unused:UNUSED_PAD src0_sel:WORD_1 src1_sel:DWORD
	v_cmp_ne_u32_e32 vcc, v12, v8
	v_fma_f16 v4, v58, v13, -v4
	v_cndmask_b32_e64 v8, 0, 1, vcc
	v_add_u32_e32 v12, 0xfffffc10, v9
	v_cvt_f32_f16_e32 v4, v4
	v_or_b32_e32 v8, v14, v8
	v_lshl_or_b32 v9, v12, 12, v11
	v_cmp_gt_i32_e32 vcc, 1, v12
	v_cndmask_b32_e32 v8, v9, v8, vcc
	v_and_b32_e32 v9, 7, v8
	v_cmp_lt_i32_e32 vcc, 5, v9
	v_cmp_eq_u32_e64 s[0:1], 3, v9
	v_lshrrev_b32_e32 v13, 2, v8
	v_cvt_f64_f32_e32 v[8:9], v4
	s_or_b64 vcc, s[0:1], vcc
	v_addc_co_u32_e32 v4, vcc, 0, v13, vcc
	v_mul_f64 v[8:9], v[8:9], s[4:5]
	v_cmp_gt_i32_e32 vcc, 31, v12
	v_cndmask_b32_e32 v4, v3, v4, vcc
	v_cmp_ne_u32_e32 vcc, 0, v11
	v_cndmask_b32_e64 v11, 0, 1, vcc
	v_lshl_or_b32 v11, v11, 9, v3
	v_cmp_eq_u32_e32 vcc, s10, v12
	v_cndmask_b32_e32 v4, v4, v11, vcc
	v_and_or_b32 v8, v9, s6, v8
	v_lshrrev_b32_e32 v10, 16, v10
	v_cmp_ne_u32_e32 vcc, 0, v8
	v_and_or_b32 v4, v10, s11, v4
	v_cndmask_b32_e64 v8, 0, 1, vcc
	v_lshrrev_b32_e32 v10, 8, v9
	v_bfe_u32 v11, v9, 20, 11
	v_and_or_b32 v8, v10, s7, v8
	v_sub_u32_e32 v12, 0x3f1, v11
	v_or_b32_e32 v10, 0x1000, v8
	v_med3_i32 v12, v12, 0, 13
	v_lshrrev_b32_e32 v13, v12, v10
	v_lshlrev_b32_e32 v12, v12, v13
	v_cmp_ne_u32_e32 vcc, v12, v10
	v_cndmask_b32_e64 v10, 0, 1, vcc
	v_add_u32_e32 v11, 0xfffffc10, v11
	v_or_b32_e32 v10, v13, v10
	v_lshl_or_b32 v12, v11, 12, v8
	v_cmp_gt_i32_e32 vcc, 1, v11
	v_cndmask_b32_e32 v10, v12, v10, vcc
	v_and_b32_e32 v12, 7, v10
	v_cmp_lt_i32_e32 vcc, 5, v12
	v_cmp_eq_u32_e64 s[0:1], 3, v12
	v_lshrrev_b32_e32 v12, 16, v5
	v_lshrrev_b32_e32 v10, 2, v10
	s_or_b64 vcc, s[0:1], vcc
	v_mul_f16_sdwa v13, v57, v12 dst_sel:DWORD dst_unused:UNUSED_PAD src0_sel:WORD_1 src1_sel:DWORD
	v_addc_co_u32_e32 v10, vcc, 0, v10, vcc
	v_fma_f16 v13, v57, v5, v13
	v_cmp_gt_i32_e32 vcc, 31, v11
	v_cvt_f32_f16_e32 v13, v13
	v_cndmask_b32_e32 v10, v3, v10, vcc
	v_cmp_ne_u32_e32 vcc, 0, v8
	v_cndmask_b32_e64 v8, 0, 1, vcc
	v_lshl_or_b32 v8, v8, 9, v3
	v_cmp_eq_u32_e32 vcc, s10, v11
	v_cndmask_b32_e32 v8, v10, v8, vcc
	v_cvt_f64_f32_e32 v[10:11], v13
	v_lshrrev_b32_e32 v9, 16, v9
	v_and_or_b32 v13, v9, s11, v8
	v_and_b32_e32 v4, 0xffff, v4
	v_mul_f64 v[8:9], v[10:11], s[4:5]
	v_mov_b32_e32 v10, s2
	v_add_co_u32_e32 v6, vcc, s3, v6
	v_lshl_or_b32 v4, v13, 16, v4
	v_addc_co_u32_e32 v7, vcc, v7, v10, vcc
	global_store_dword v[6:7], v4, off
	v_and_or_b32 v4, v9, s6, v8
	v_cmp_ne_u32_e32 vcc, 0, v4
	v_cndmask_b32_e64 v4, 0, 1, vcc
	v_lshrrev_b32_e32 v8, 8, v9
	v_bfe_u32 v10, v9, 20, 11
	v_and_or_b32 v8, v8, s7, v4
	v_sub_u32_e32 v11, 0x3f1, v10
	v_or_b32_e32 v4, 0x1000, v8
	v_med3_i32 v11, v11, 0, 13
	v_lshrrev_b32_e32 v13, v11, v4
	v_lshlrev_b32_e32 v11, v11, v13
	v_mul_f16_sdwa v5, v57, v5 dst_sel:DWORD dst_unused:UNUSED_PAD src0_sel:WORD_1 src1_sel:DWORD
	v_cmp_ne_u32_e32 vcc, v11, v4
	v_fma_f16 v5, v57, v12, -v5
	v_cndmask_b32_e64 v4, 0, 1, vcc
	v_add_u32_e32 v10, 0xfffffc10, v10
	v_cvt_f32_f16_e32 v5, v5
	v_or_b32_e32 v4, v13, v4
	v_lshl_or_b32 v11, v10, 12, v8
	v_cmp_gt_i32_e32 vcc, 1, v10
	v_cndmask_b32_e32 v4, v11, v4, vcc
	v_and_b32_e32 v11, 7, v4
	v_cmp_lt_i32_e32 vcc, 5, v11
	v_cmp_eq_u32_e64 s[0:1], 3, v11
	v_lshrrev_b32_e32 v11, 2, v4
	v_cvt_f64_f32_e32 v[4:5], v5
	s_or_b64 vcc, s[0:1], vcc
	v_addc_co_u32_e32 v11, vcc, 0, v11, vcc
	v_mul_f64 v[4:5], v[4:5], s[4:5]
	v_cmp_gt_i32_e32 vcc, 31, v10
	v_cndmask_b32_e32 v11, v3, v11, vcc
	v_cmp_ne_u32_e32 vcc, 0, v8
	v_cndmask_b32_e64 v8, 0, 1, vcc
	v_lshl_or_b32 v8, v8, 9, v3
	v_cmp_eq_u32_e32 vcc, s10, v10
	v_cndmask_b32_e32 v8, v11, v8, vcc
	v_and_or_b32 v4, v5, s6, v4
	v_lshrrev_b32_e32 v9, 16, v9
	v_cmp_ne_u32_e32 vcc, 0, v4
	v_and_or_b32 v12, v9, s11, v8
	v_cndmask_b32_e64 v4, 0, 1, vcc
	v_lshrrev_b32_e32 v8, 8, v5
	v_bfe_u32 v9, v5, 20, 11
	v_and_or_b32 v4, v8, s7, v4
	v_sub_u32_e32 v10, 0x3f1, v9
	v_or_b32_e32 v8, 0x1000, v4
	v_med3_i32 v10, v10, 0, 13
	v_lshrrev_b32_e32 v11, v10, v8
	v_lshlrev_b32_e32 v10, v10, v11
	v_cmp_ne_u32_e32 vcc, v10, v8
	v_cndmask_b32_e64 v8, 0, 1, vcc
	v_add_u32_e32 v10, 0xfffffc10, v9
	v_or_b32_e32 v8, v11, v8
	v_lshl_or_b32 v9, v10, 12, v4
	v_cmp_gt_i32_e32 vcc, 1, v10
	v_cndmask_b32_e32 v8, v9, v8, vcc
	v_and_b32_e32 v9, 7, v8
	v_cmp_lt_i32_e32 vcc, 5, v9
	v_cmp_eq_u32_e64 s[0:1], 3, v9
	v_lshrrev_b32_e32 v8, 2, v8
	s_or_b64 vcc, s[0:1], vcc
	v_addc_co_u32_e32 v11, vcc, 0, v8, vcc
	ds_read2_b32 v[8:9], v2 offset0:38 offset1:157
	v_cmp_gt_i32_e32 vcc, 31, v10
	v_cndmask_b32_e32 v2, v3, v11, vcc
	v_cmp_ne_u32_e32 vcc, 0, v4
	v_cndmask_b32_e64 v4, 0, 1, vcc
	s_waitcnt lgkmcnt(0)
	v_lshrrev_b32_e32 v13, 16, v8
	v_mul_f16_sdwa v11, v56, v13 dst_sel:DWORD dst_unused:UNUSED_PAD src0_sel:WORD_1 src1_sel:DWORD
	v_fma_f16 v11, v56, v8, v11
	v_cvt_f32_f16_e32 v11, v11
	v_cmp_eq_u32_e32 vcc, s10, v10
	v_lshl_or_b32 v4, v4, 9, v3
	v_cndmask_b32_e32 v2, v2, v4, vcc
	v_cvt_f64_f32_e32 v[10:11], v11
	v_lshrrev_b32_e32 v4, 16, v5
	v_and_or_b32 v2, v4, s11, v2
	v_and_b32_e32 v12, 0xffff, v12
	v_mul_f64 v[4:5], v[10:11], s[4:5]
	v_mov_b32_e32 v10, s2
	v_add_co_u32_e32 v6, vcc, s3, v6
	v_lshl_or_b32 v2, v2, 16, v12
	v_addc_co_u32_e32 v7, vcc, v7, v10, vcc
	global_store_dword v[6:7], v2, off
	v_and_or_b32 v2, v5, s6, v4
	v_cmp_ne_u32_e32 vcc, 0, v2
	v_cndmask_b32_e64 v2, 0, 1, vcc
	v_lshrrev_b32_e32 v4, 8, v5
	v_bfe_u32 v10, v5, 20, 11
	v_and_or_b32 v2, v4, s7, v2
	v_sub_u32_e32 v11, 0x3f1, v10
	v_or_b32_e32 v4, 0x1000, v2
	v_med3_i32 v11, v11, 0, 13
	v_lshrrev_b32_e32 v12, v11, v4
	v_lshlrev_b32_e32 v11, v11, v12
	v_cmp_ne_u32_e32 vcc, v11, v4
	v_mul_f16_sdwa v8, v56, v8 dst_sel:DWORD dst_unused:UNUSED_PAD src0_sel:WORD_1 src1_sel:DWORD
	v_cndmask_b32_e64 v4, 0, 1, vcc
	v_fma_f16 v8, v56, v13, -v8
	v_or_b32_e32 v4, v12, v4
	v_add_u32_e32 v12, 0xfffffc10, v10
	v_cvt_f32_f16_e32 v8, v8
	v_lshl_or_b32 v10, v12, 12, v2
	v_cmp_gt_i32_e32 vcc, 1, v12
	v_cndmask_b32_e32 v4, v10, v4, vcc
	v_and_b32_e32 v10, 7, v4
	v_cmp_lt_i32_e32 vcc, 5, v10
	v_cmp_eq_u32_e64 s[0:1], 3, v10
	v_cvt_f64_f32_e32 v[10:11], v8
	v_lshrrev_b32_e32 v4, 2, v4
	s_or_b64 vcc, s[0:1], vcc
	v_addc_co_u32_e32 v4, vcc, 0, v4, vcc
	v_mul_f64 v[10:11], v[10:11], s[4:5]
	v_cmp_gt_i32_e32 vcc, 31, v12
	v_cndmask_b32_e32 v4, v3, v4, vcc
	v_cmp_ne_u32_e32 vcc, 0, v2
	v_cndmask_b32_e64 v2, 0, 1, vcc
	v_lshl_or_b32 v2, v2, 9, v3
	v_cmp_eq_u32_e32 vcc, s10, v12
	v_cndmask_b32_e32 v2, v4, v2, vcc
	v_lshrrev_b32_e32 v4, 16, v5
	v_and_or_b32 v2, v4, s11, v2
	v_and_or_b32 v4, v11, s6, v10
	v_cmp_ne_u32_e32 vcc, 0, v4
	v_cndmask_b32_e64 v4, 0, 1, vcc
	v_lshrrev_b32_e32 v5, 8, v11
	v_bfe_u32 v8, v11, 20, 11
	v_and_or_b32 v4, v5, s7, v4
	v_sub_u32_e32 v10, 0x3f1, v8
	v_or_b32_e32 v5, 0x1000, v4
	v_med3_i32 v10, v10, 0, 13
	v_lshrrev_b32_e32 v12, v10, v5
	v_lshlrev_b32_e32 v10, v10, v12
	v_cmp_ne_u32_e32 vcc, v10, v5
	v_cndmask_b32_e64 v5, 0, 1, vcc
	v_add_u32_e32 v8, 0xfffffc10, v8
	v_or_b32_e32 v5, v12, v5
	v_lshl_or_b32 v10, v8, 12, v4
	v_cmp_gt_i32_e32 vcc, 1, v8
	v_cndmask_b32_e32 v5, v10, v5, vcc
	v_and_b32_e32 v10, 7, v5
	v_cmp_lt_i32_e32 vcc, 5, v10
	v_cmp_eq_u32_e64 s[0:1], 3, v10
	v_lshrrev_b32_e32 v10, 16, v9
	v_lshrrev_b32_e32 v5, 2, v5
	s_or_b64 vcc, s[0:1], vcc
	v_mul_f16_sdwa v12, v55, v10 dst_sel:DWORD dst_unused:UNUSED_PAD src0_sel:WORD_1 src1_sel:DWORD
	v_addc_co_u32_e32 v5, vcc, 0, v5, vcc
	v_fma_f16 v12, v55, v9, v12
	v_cmp_gt_i32_e32 vcc, 31, v8
	v_cvt_f32_f16_e32 v12, v12
	v_cndmask_b32_e32 v5, v3, v5, vcc
	v_cmp_ne_u32_e32 vcc, 0, v4
	v_cndmask_b32_e64 v4, 0, 1, vcc
	v_lshl_or_b32 v4, v4, 9, v3
	v_cmp_eq_u32_e32 vcc, s10, v8
	v_cndmask_b32_e32 v8, v5, v4, vcc
	v_cvt_f64_f32_e32 v[4:5], v12
	v_lshrrev_b32_e32 v11, 16, v11
	v_and_or_b32 v8, v11, s11, v8
	v_and_b32_e32 v2, 0xffff, v2
	v_mul_f64 v[4:5], v[4:5], s[4:5]
	v_lshl_or_b32 v2, v8, 16, v2
	v_mov_b32_e32 v8, s2
	v_add_co_u32_e32 v6, vcc, s3, v6
	v_addc_co_u32_e32 v7, vcc, v7, v8, vcc
	global_store_dword v[6:7], v2, off
	v_and_or_b32 v2, v5, s6, v4
	v_cmp_ne_u32_e32 vcc, 0, v2
	v_cndmask_b32_e64 v2, 0, 1, vcc
	v_lshrrev_b32_e32 v4, 8, v5
	v_bfe_u32 v8, v5, 20, 11
	v_and_or_b32 v2, v4, s7, v2
	v_sub_u32_e32 v11, 0x3f1, v8
	v_or_b32_e32 v4, 0x1000, v2
	v_med3_i32 v11, v11, 0, 13
	v_lshrrev_b32_e32 v12, v11, v4
	v_lshlrev_b32_e32 v11, v11, v12
	v_mul_f16_sdwa v9, v55, v9 dst_sel:DWORD dst_unused:UNUSED_PAD src0_sel:WORD_1 src1_sel:DWORD
	v_cmp_ne_u32_e32 vcc, v11, v4
	v_fma_f16 v9, v55, v10, -v9
	v_cndmask_b32_e64 v4, 0, 1, vcc
	v_add_u32_e32 v11, 0xfffffc10, v8
	v_cvt_f32_f16_e32 v9, v9
	v_or_b32_e32 v4, v12, v4
	v_lshl_or_b32 v8, v11, 12, v2
	v_cmp_gt_i32_e32 vcc, 1, v11
	v_cndmask_b32_e32 v4, v8, v4, vcc
	v_and_b32_e32 v8, 7, v4
	v_cmp_lt_i32_e32 vcc, 5, v8
	v_cmp_eq_u32_e64 s[0:1], 3, v8
	v_cvt_f64_f32_e32 v[8:9], v9
	v_lshrrev_b32_e32 v4, 2, v4
	s_or_b64 vcc, s[0:1], vcc
	v_addc_co_u32_e32 v4, vcc, 0, v4, vcc
	v_mul_f64 v[8:9], v[8:9], s[4:5]
	v_cmp_gt_i32_e32 vcc, 31, v11
	v_cndmask_b32_e32 v4, v3, v4, vcc
	v_cmp_ne_u32_e32 vcc, 0, v2
	v_cndmask_b32_e64 v2, 0, 1, vcc
	v_lshl_or_b32 v2, v2, 9, v3
	v_cmp_eq_u32_e32 vcc, s10, v11
	v_cndmask_b32_e32 v2, v4, v2, vcc
	v_lshrrev_b32_e32 v4, 16, v5
	v_and_or_b32 v10, v4, s11, v2
	v_and_or_b32 v2, v9, s6, v8
	v_cmp_ne_u32_e32 vcc, 0, v2
	v_cndmask_b32_e64 v2, 0, 1, vcc
	v_lshrrev_b32_e32 v4, 8, v9
	v_bfe_u32 v5, v9, 20, 11
	v_and_or_b32 v4, v4, s7, v2
	v_sub_u32_e32 v8, 0x3f1, v5
	v_or_b32_e32 v2, 0x1000, v4
	v_med3_i32 v8, v8, 0, 13
	v_lshrrev_b32_e32 v11, v8, v2
	v_lshlrev_b32_e32 v8, v8, v11
	v_cmp_ne_u32_e32 vcc, v8, v2
	v_cndmask_b32_e64 v2, 0, 1, vcc
	v_add_u32_e32 v5, 0xfffffc10, v5
	v_or_b32_e32 v2, v11, v2
	v_lshl_or_b32 v8, v5, 12, v4
	v_cmp_gt_i32_e32 vcc, 1, v5
	v_cndmask_b32_e32 v2, v8, v2, vcc
	v_and_b32_e32 v8, 7, v2
	v_cmp_lt_i32_e32 vcc, 5, v8
	v_cmp_eq_u32_e64 s[0:1], 3, v8
	v_lshrrev_b32_e32 v2, 2, v2
	s_or_b64 vcc, s[0:1], vcc
	v_addc_co_u32_e32 v8, vcc, 0, v2, vcc
	ds_read2_b32 v[1:2], v1 offset0:20 offset1:139
	v_cmp_gt_i32_e32 vcc, 31, v5
	v_cndmask_b32_e32 v8, v3, v8, vcc
	v_cmp_ne_u32_e32 vcc, 0, v4
	v_cndmask_b32_e64 v4, 0, 1, vcc
	s_waitcnt lgkmcnt(0)
	v_lshrrev_b32_e32 v11, 16, v1
	v_mul_f16_sdwa v12, v54, v11 dst_sel:DWORD dst_unused:UNUSED_PAD src0_sel:WORD_1 src1_sel:DWORD
	v_fma_f16 v12, v54, v1, v12
	v_cvt_f32_f16_e32 v12, v12
	v_lshl_or_b32 v4, v4, 9, v3
	v_cmp_eq_u32_e32 vcc, s10, v5
	v_cndmask_b32_e32 v8, v8, v4, vcc
	v_cvt_f64_f32_e32 v[4:5], v12
	v_lshrrev_b32_e32 v9, 16, v9
	v_and_or_b32 v8, v9, s11, v8
	v_and_b32_e32 v9, 0xffff, v10
	v_mul_f64 v[4:5], v[4:5], s[4:5]
	v_lshl_or_b32 v8, v8, 16, v9
	v_mov_b32_e32 v9, s2
	v_add_co_u32_e32 v6, vcc, s3, v6
	v_addc_co_u32_e32 v7, vcc, v7, v9, vcc
	global_store_dword v[6:7], v8, off
	v_and_or_b32 v4, v5, s6, v4
	v_cmp_ne_u32_e32 vcc, 0, v4
	v_cndmask_b32_e64 v4, 0, 1, vcc
	v_lshrrev_b32_e32 v8, 8, v5
	v_bfe_u32 v9, v5, 20, 11
	v_and_or_b32 v4, v8, s7, v4
	v_sub_u32_e32 v10, 0x3f1, v9
	v_or_b32_e32 v8, 0x1000, v4
	v_med3_i32 v10, v10, 0, 13
	v_lshrrev_b32_e32 v12, v10, v8
	v_lshlrev_b32_e32 v10, v10, v12
	v_mul_f16_sdwa v1, v54, v1 dst_sel:DWORD dst_unused:UNUSED_PAD src0_sel:WORD_1 src1_sel:DWORD
	v_cmp_ne_u32_e32 vcc, v10, v8
	v_fma_f16 v1, v54, v11, -v1
	v_cndmask_b32_e64 v8, 0, 1, vcc
	v_add_u32_e32 v10, 0xfffffc10, v9
	v_cvt_f32_f16_e32 v1, v1
	v_or_b32_e32 v8, v12, v8
	v_lshl_or_b32 v9, v10, 12, v4
	v_cmp_gt_i32_e32 vcc, 1, v10
	v_cndmask_b32_e32 v8, v9, v8, vcc
	v_and_b32_e32 v9, 7, v8
	v_cmp_lt_i32_e32 vcc, 5, v9
	v_cmp_eq_u32_e64 s[0:1], 3, v9
	v_lshrrev_b32_e32 v11, 2, v8
	v_cvt_f64_f32_e32 v[8:9], v1
	s_or_b64 vcc, s[0:1], vcc
	v_addc_co_u32_e32 v1, vcc, 0, v11, vcc
	v_mul_f64 v[8:9], v[8:9], s[4:5]
	v_cmp_gt_i32_e32 vcc, 31, v10
	v_cndmask_b32_e32 v1, v3, v1, vcc
	v_cmp_ne_u32_e32 vcc, 0, v4
	v_cndmask_b32_e64 v4, 0, 1, vcc
	v_lshl_or_b32 v4, v4, 9, v3
	v_cmp_eq_u32_e32 vcc, s10, v10
	v_cndmask_b32_e32 v1, v1, v4, vcc
	v_lshrrev_b32_e32 v4, 16, v5
	v_and_or_b32 v1, v4, s11, v1
	v_and_or_b32 v4, v9, s6, v8
	v_cmp_ne_u32_e32 vcc, 0, v4
	v_cndmask_b32_e64 v4, 0, 1, vcc
	v_lshrrev_b32_e32 v5, 8, v9
	v_bfe_u32 v8, v9, 20, 11
	v_and_or_b32 v4, v5, s7, v4
	v_sub_u32_e32 v10, 0x3f1, v8
	v_or_b32_e32 v5, 0x1000, v4
	v_med3_i32 v10, v10, 0, 13
	v_lshrrev_b32_e32 v11, v10, v5
	v_lshlrev_b32_e32 v10, v10, v11
	v_cmp_ne_u32_e32 vcc, v10, v5
	v_cndmask_b32_e64 v5, 0, 1, vcc
	v_add_u32_e32 v8, 0xfffffc10, v8
	v_or_b32_e32 v5, v11, v5
	v_lshl_or_b32 v10, v8, 12, v4
	v_cmp_gt_i32_e32 vcc, 1, v8
	v_cndmask_b32_e32 v5, v10, v5, vcc
	v_and_b32_e32 v10, 7, v5
	v_cmp_lt_i32_e32 vcc, 5, v10
	v_cmp_eq_u32_e64 s[0:1], 3, v10
	v_lshrrev_b32_e32 v10, 16, v2
	v_lshrrev_b32_e32 v5, 2, v5
	s_or_b64 vcc, s[0:1], vcc
	v_mul_f16_sdwa v11, v53, v10 dst_sel:DWORD dst_unused:UNUSED_PAD src0_sel:WORD_1 src1_sel:DWORD
	v_addc_co_u32_e32 v5, vcc, 0, v5, vcc
	v_fma_f16 v11, v53, v2, v11
	v_cmp_gt_i32_e32 vcc, 31, v8
	v_cvt_f32_f16_e32 v11, v11
	v_cndmask_b32_e32 v5, v3, v5, vcc
	v_cmp_ne_u32_e32 vcc, 0, v4
	v_cndmask_b32_e64 v4, 0, 1, vcc
	v_lshl_or_b32 v4, v4, 9, v3
	v_cmp_eq_u32_e32 vcc, s10, v8
	v_cndmask_b32_e32 v8, v5, v4, vcc
	v_cvt_f64_f32_e32 v[4:5], v11
	v_lshrrev_b32_e32 v9, 16, v9
	v_and_or_b32 v8, v9, s11, v8
	v_and_b32_e32 v1, 0xffff, v1
	v_mul_f64 v[4:5], v[4:5], s[4:5]
	v_lshl_or_b32 v1, v8, 16, v1
	v_mov_b32_e32 v8, s2
	v_add_co_u32_e32 v6, vcc, s3, v6
	v_addc_co_u32_e32 v7, vcc, v7, v8, vcc
	global_store_dword v[6:7], v1, off
	v_and_or_b32 v1, v5, s6, v4
	v_cmp_ne_u32_e32 vcc, 0, v1
	v_cndmask_b32_e64 v1, 0, 1, vcc
	v_lshrrev_b32_e32 v4, 8, v5
	v_bfe_u32 v8, v5, 20, 11
	v_and_or_b32 v4, v4, s7, v1
	v_sub_u32_e32 v9, 0x3f1, v8
	v_or_b32_e32 v1, 0x1000, v4
	v_med3_i32 v9, v9, 0, 13
	v_lshrrev_b32_e32 v11, v9, v1
	v_lshlrev_b32_e32 v9, v9, v11
	v_mul_f16_sdwa v2, v53, v2 dst_sel:DWORD dst_unused:UNUSED_PAD src0_sel:WORD_1 src1_sel:DWORD
	v_cmp_ne_u32_e32 vcc, v9, v1
	v_fma_f16 v2, v53, v10, -v2
	v_cndmask_b32_e64 v1, 0, 1, vcc
	v_add_u32_e32 v8, 0xfffffc10, v8
	v_cvt_f32_f16_e32 v2, v2
	v_or_b32_e32 v1, v11, v1
	v_lshl_or_b32 v9, v8, 12, v4
	v_cmp_gt_i32_e32 vcc, 1, v8
	v_cndmask_b32_e32 v1, v9, v1, vcc
	v_and_b32_e32 v9, 7, v1
	v_cmp_lt_i32_e32 vcc, 5, v9
	v_cmp_eq_u32_e64 s[0:1], 3, v9
	v_lshrrev_b32_e32 v9, 2, v1
	v_cvt_f64_f32_e32 v[1:2], v2
	s_or_b64 vcc, s[0:1], vcc
	v_addc_co_u32_e32 v9, vcc, 0, v9, vcc
	v_mul_f64 v[1:2], v[1:2], s[4:5]
	v_cmp_gt_i32_e32 vcc, 31, v8
	v_cndmask_b32_e32 v9, v3, v9, vcc
	v_cmp_ne_u32_e32 vcc, 0, v4
	v_cndmask_b32_e64 v4, 0, 1, vcc
	v_lshl_or_b32 v4, v4, 9, v3
	v_cmp_eq_u32_e32 vcc, s10, v8
	v_cndmask_b32_e32 v4, v9, v4, vcc
	v_and_or_b32 v1, v2, s6, v1
	v_lshrrev_b32_e32 v5, 16, v5
	v_cmp_ne_u32_e32 vcc, 0, v1
	v_and_or_b32 v8, v5, s11, v4
	v_cndmask_b32_e64 v1, 0, 1, vcc
	v_lshrrev_b32_e32 v4, 8, v2
	v_bfe_u32 v5, v2, 20, 11
	v_and_or_b32 v4, v4, s7, v1
	v_sub_u32_e32 v9, 0x3f1, v5
	v_or_b32_e32 v1, 0x1000, v4
	v_med3_i32 v9, v9, 0, 13
	v_lshrrev_b32_e32 v10, v9, v1
	v_lshlrev_b32_e32 v9, v9, v10
	v_cmp_ne_u32_e32 vcc, v9, v1
	v_cndmask_b32_e64 v1, 0, 1, vcc
	v_add_u32_e32 v5, 0xfffffc10, v5
	v_or_b32_e32 v1, v10, v1
	v_lshl_or_b32 v9, v5, 12, v4
	v_cmp_gt_i32_e32 vcc, 1, v5
	v_cndmask_b32_e32 v1, v9, v1, vcc
	v_and_b32_e32 v9, 7, v1
	v_cmp_lt_i32_e32 vcc, 5, v9
	v_cmp_eq_u32_e64 s[0:1], 3, v9
	v_lshrrev_b32_e32 v1, 2, v1
	s_or_b64 vcc, s[0:1], vcc
	v_addc_co_u32_e32 v9, vcc, 0, v1, vcc
	ds_read2_b32 v[0:1], v0 offset0:130 offset1:249
	v_cmp_gt_i32_e32 vcc, 31, v5
	v_cndmask_b32_e32 v9, v3, v9, vcc
	v_cmp_ne_u32_e32 vcc, 0, v4
	v_cndmask_b32_e64 v4, 0, 1, vcc
	s_waitcnt lgkmcnt(0)
	v_lshrrev_b32_e32 v10, 16, v0
	v_mul_f16_sdwa v11, v52, v10 dst_sel:DWORD dst_unused:UNUSED_PAD src0_sel:WORD_1 src1_sel:DWORD
	v_fma_f16 v11, v52, v0, v11
	v_cvt_f32_f16_e32 v11, v11
	v_lshl_or_b32 v4, v4, 9, v3
	v_cmp_eq_u32_e32 vcc, s10, v5
	v_cndmask_b32_e32 v9, v9, v4, vcc
	v_cvt_f64_f32_e32 v[4:5], v11
	v_lshrrev_b32_e32 v2, 16, v2
	v_and_or_b32 v2, v2, s11, v9
	v_and_b32_e32 v8, 0xffff, v8
	v_mul_f64 v[4:5], v[4:5], s[4:5]
	v_lshl_or_b32 v2, v2, 16, v8
	v_mov_b32_e32 v8, s2
	v_add_co_u32_e32 v6, vcc, s3, v6
	v_addc_co_u32_e32 v7, vcc, v7, v8, vcc
	global_store_dword v[6:7], v2, off
	v_and_or_b32 v2, v5, s6, v4
	v_cmp_ne_u32_e32 vcc, 0, v2
	v_cndmask_b32_e64 v2, 0, 1, vcc
	v_lshrrev_b32_e32 v4, 8, v5
	v_bfe_u32 v8, v5, 20, 11
	v_and_or_b32 v2, v4, s7, v2
	v_sub_u32_e32 v9, 0x3f1, v8
	v_or_b32_e32 v4, 0x1000, v2
	v_med3_i32 v9, v9, 0, 13
	v_lshrrev_b32_e32 v11, v9, v4
	v_lshlrev_b32_e32 v9, v9, v11
	v_cmp_ne_u32_e32 vcc, v9, v4
	v_mul_f16_sdwa v0, v52, v0 dst_sel:DWORD dst_unused:UNUSED_PAD src0_sel:WORD_1 src1_sel:DWORD
	v_cndmask_b32_e64 v4, 0, 1, vcc
	v_fma_f16 v0, v52, v10, -v0
	v_or_b32_e32 v4, v11, v4
	v_add_u32_e32 v11, 0xfffffc10, v8
	v_cvt_f32_f16_e32 v0, v0
	v_lshl_or_b32 v8, v11, 12, v2
	v_cmp_gt_i32_e32 vcc, 1, v11
	v_cndmask_b32_e32 v4, v8, v4, vcc
	v_and_b32_e32 v8, 7, v4
	v_cmp_lt_i32_e32 vcc, 5, v8
	v_cmp_eq_u32_e64 s[0:1], 3, v8
	v_cvt_f64_f32_e32 v[8:9], v0
	v_lshrrev_b32_e32 v4, 2, v4
	s_or_b64 vcc, s[0:1], vcc
	v_addc_co_u32_e32 v0, vcc, 0, v4, vcc
	v_mul_f64 v[8:9], v[8:9], s[4:5]
	v_cmp_gt_i32_e32 vcc, 31, v11
	v_cndmask_b32_e32 v0, v3, v0, vcc
	v_cmp_ne_u32_e32 vcc, 0, v2
	v_cndmask_b32_e64 v2, 0, 1, vcc
	v_lshl_or_b32 v2, v2, 9, v3
	v_cmp_eq_u32_e32 vcc, s10, v11
	v_cndmask_b32_e32 v0, v0, v2, vcc
	v_lshrrev_b32_e32 v2, 16, v5
	v_and_or_b32 v0, v2, s11, v0
	v_and_or_b32 v2, v9, s6, v8
	v_cmp_ne_u32_e32 vcc, 0, v2
	v_cndmask_b32_e64 v2, 0, 1, vcc
	v_lshrrev_b32_e32 v4, 8, v9
	v_bfe_u32 v5, v9, 20, 11
	v_and_or_b32 v2, v4, s7, v2
	v_sub_u32_e32 v8, 0x3f1, v5
	v_or_b32_e32 v4, 0x1000, v2
	v_med3_i32 v8, v8, 0, 13
	v_lshrrev_b32_e32 v10, v8, v4
	v_lshlrev_b32_e32 v8, v8, v10
	v_cmp_ne_u32_e32 vcc, v8, v4
	v_cndmask_b32_e64 v4, 0, 1, vcc
	v_add_u32_e32 v5, 0xfffffc10, v5
	v_or_b32_e32 v4, v10, v4
	v_lshl_or_b32 v8, v5, 12, v2
	v_cmp_gt_i32_e32 vcc, 1, v5
	v_cndmask_b32_e32 v4, v8, v4, vcc
	v_and_b32_e32 v8, 7, v4
	v_cmp_lt_i32_e32 vcc, 5, v8
	v_cmp_eq_u32_e64 s[0:1], 3, v8
	v_lshrrev_b32_e32 v8, 16, v1
	v_lshrrev_b32_e32 v4, 2, v4
	s_or_b64 vcc, s[0:1], vcc
	v_mul_f16_sdwa v10, v51, v8 dst_sel:DWORD dst_unused:UNUSED_PAD src0_sel:WORD_1 src1_sel:DWORD
	v_addc_co_u32_e32 v4, vcc, 0, v4, vcc
	v_fma_f16 v10, v51, v1, v10
	v_cmp_gt_i32_e32 vcc, 31, v5
	v_cvt_f32_f16_e32 v10, v10
	v_cndmask_b32_e32 v4, v3, v4, vcc
	v_cmp_ne_u32_e32 vcc, 0, v2
	v_cndmask_b32_e64 v2, 0, 1, vcc
	v_lshl_or_b32 v2, v2, 9, v3
	v_cmp_eq_u32_e32 vcc, s10, v5
	v_cndmask_b32_e32 v2, v4, v2, vcc
	v_cvt_f64_f32_e32 v[4:5], v10
	v_lshrrev_b32_e32 v9, 16, v9
	v_and_or_b32 v2, v9, s11, v2
	v_and_b32_e32 v0, 0xffff, v0
	v_mul_f64 v[4:5], v[4:5], s[4:5]
	v_lshl_or_b32 v0, v2, 16, v0
	v_mov_b32_e32 v2, s2
	v_add_co_u32_e32 v6, vcc, s3, v6
	v_addc_co_u32_e32 v7, vcc, v7, v2, vcc
	global_store_dword v[6:7], v0, off
	v_and_or_b32 v0, v5, s6, v4
	v_cmp_ne_u32_e32 vcc, 0, v0
	v_cndmask_b32_e64 v0, 0, 1, vcc
	v_lshrrev_b32_e32 v2, 8, v5
	v_bfe_u32 v4, v5, 20, 11
	v_and_or_b32 v2, v2, s7, v0
	v_sub_u32_e32 v9, 0x3f1, v4
	v_or_b32_e32 v0, 0x1000, v2
	v_med3_i32 v9, v9, 0, 13
	v_lshrrev_b32_e32 v10, v9, v0
	v_mul_f16_sdwa v1, v51, v1 dst_sel:DWORD dst_unused:UNUSED_PAD src0_sel:WORD_1 src1_sel:DWORD
	v_lshlrev_b32_e32 v9, v9, v10
	v_fma_f16 v1, v51, v8, -v1
	v_cmp_ne_u32_e32 vcc, v9, v0
	v_cvt_f32_f16_e32 v1, v1
	v_cndmask_b32_e64 v0, 0, 1, vcc
	v_add_u32_e32 v4, 0xfffffc10, v4
	v_or_b32_e32 v0, v10, v0
	v_lshl_or_b32 v9, v4, 12, v2
	v_cmp_gt_i32_e32 vcc, 1, v4
	v_cndmask_b32_e32 v0, v9, v0, vcc
	v_and_b32_e32 v9, 7, v0
	v_lshrrev_b32_e32 v8, 2, v0
	v_cvt_f64_f32_e32 v[0:1], v1
	v_cmp_lt_i32_e32 vcc, 5, v9
	v_cmp_eq_u32_e64 s[0:1], 3, v9
	s_or_b64 vcc, s[0:1], vcc
	v_mul_f64 v[0:1], v[0:1], s[4:5]
	v_addc_co_u32_e32 v8, vcc, 0, v8, vcc
	v_cmp_gt_i32_e32 vcc, 31, v4
	v_cndmask_b32_e32 v8, v3, v8, vcc
	v_cmp_ne_u32_e32 vcc, 0, v2
	v_cndmask_b32_e64 v2, 0, 1, vcc
	v_lshl_or_b32 v2, v2, 9, v3
	v_cmp_eq_u32_e32 vcc, s10, v4
	v_and_or_b32 v0, v1, s6, v0
	v_cndmask_b32_e32 v2, v8, v2, vcc
	v_lshrrev_b32_e32 v4, 16, v5
	v_cmp_ne_u32_e32 vcc, 0, v0
	v_and_or_b32 v2, v4, s11, v2
	v_cndmask_b32_e64 v0, 0, 1, vcc
	v_lshrrev_b32_e32 v4, 8, v1
	v_bfe_u32 v5, v1, 20, 11
	v_and_or_b32 v0, v4, s7, v0
	v_sub_u32_e32 v8, 0x3f1, v5
	v_or_b32_e32 v4, 0x1000, v0
	v_med3_i32 v8, v8, 0, 13
	v_lshrrev_b32_e32 v9, v8, v4
	v_lshlrev_b32_e32 v8, v8, v9
	v_cmp_ne_u32_e32 vcc, v8, v4
	v_cndmask_b32_e64 v4, 0, 1, vcc
	v_add_u32_e32 v5, 0xfffffc10, v5
	v_or_b32_e32 v4, v9, v4
	v_lshl_or_b32 v8, v5, 12, v0
	v_cmp_gt_i32_e32 vcc, 1, v5
	v_cndmask_b32_e32 v4, v8, v4, vcc
	v_and_b32_e32 v8, 7, v4
	v_cmp_lt_i32_e32 vcc, 5, v8
	v_cmp_eq_u32_e64 s[0:1], 3, v8
	ds_read_b32 v8, v49 offset:7616
	v_lshrrev_b32_e32 v4, 2, v4
	s_or_b64 vcc, s[0:1], vcc
	v_addc_co_u32_e32 v4, vcc, 0, v4, vcc
	s_waitcnt lgkmcnt(0)
	v_lshrrev_b32_e32 v9, 16, v8
	v_mul_f16_sdwa v10, v50, v9 dst_sel:DWORD dst_unused:UNUSED_PAD src0_sel:WORD_1 src1_sel:DWORD
	v_fma_f16 v10, v50, v8, v10
	v_cmp_gt_i32_e32 vcc, 31, v5
	v_cvt_f32_f16_e32 v10, v10
	v_cndmask_b32_e32 v4, v3, v4, vcc
	v_cmp_ne_u32_e32 vcc, 0, v0
	v_cndmask_b32_e64 v0, 0, 1, vcc
	v_lshl_or_b32 v0, v0, 9, v3
	v_cmp_eq_u32_e32 vcc, s10, v5
	v_cndmask_b32_e32 v0, v4, v0, vcc
	v_cvt_f64_f32_e32 v[4:5], v10
	v_lshrrev_b32_e32 v1, 16, v1
	v_and_or_b32 v10, v1, s11, v0
	v_and_b32_e32 v2, 0xffff, v2
	v_mul_f64 v[0:1], v[4:5], s[4:5]
	v_mov_b32_e32 v5, s2
	v_add_co_u32_e32 v4, vcc, s3, v6
	v_addc_co_u32_e32 v5, vcc, v7, v5, vcc
	v_lshl_or_b32 v2, v10, 16, v2
	global_store_dword v[4:5], v2, off
	v_and_or_b32 v0, v1, s6, v0
	v_cmp_ne_u32_e32 vcc, 0, v0
	v_cndmask_b32_e64 v0, 0, 1, vcc
	v_lshrrev_b32_e32 v2, 8, v1
	v_bfe_u32 v6, v1, 20, 11
	v_and_or_b32 v0, v2, s7, v0
	v_sub_u32_e32 v7, 0x3f1, v6
	v_or_b32_e32 v2, 0x1000, v0
	v_med3_i32 v7, v7, 0, 13
	v_lshrrev_b32_e32 v10, v7, v2
	v_lshlrev_b32_e32 v7, v7, v10
	v_cmp_ne_u32_e32 vcc, v7, v2
	v_mul_f16_sdwa v7, v50, v8 dst_sel:DWORD dst_unused:UNUSED_PAD src0_sel:WORD_1 src1_sel:DWORD
	v_cndmask_b32_e64 v2, 0, 1, vcc
	v_fma_f16 v7, v50, v9, -v7
	v_or_b32_e32 v2, v10, v2
	v_add_u32_e32 v10, 0xfffffc10, v6
	v_cvt_f32_f16_e32 v7, v7
	v_lshl_or_b32 v6, v10, 12, v0
	v_cmp_gt_i32_e32 vcc, 1, v10
	v_cndmask_b32_e32 v2, v6, v2, vcc
	v_and_b32_e32 v6, 7, v2
	v_cmp_lt_i32_e32 vcc, 5, v6
	v_cmp_eq_u32_e64 s[0:1], 3, v6
	v_cvt_f64_f32_e32 v[6:7], v7
	v_lshrrev_b32_e32 v2, 2, v2
	s_or_b64 vcc, s[0:1], vcc
	v_addc_co_u32_e32 v2, vcc, 0, v2, vcc
	v_mul_f64 v[6:7], v[6:7], s[4:5]
	v_cmp_gt_i32_e32 vcc, 31, v10
	v_cndmask_b32_e32 v2, v3, v2, vcc
	v_cmp_ne_u32_e32 vcc, 0, v0
	v_cndmask_b32_e64 v0, 0, 1, vcc
	v_lshl_or_b32 v0, v0, 9, v3
	v_cmp_eq_u32_e32 vcc, s10, v10
	v_cndmask_b32_e32 v0, v2, v0, vcc
	v_lshrrev_b32_e32 v1, 16, v1
	v_and_or_b32 v0, v1, s11, v0
	v_and_or_b32 v1, v7, s6, v6
	v_cmp_ne_u32_e32 vcc, 0, v1
	v_cndmask_b32_e64 v1, 0, 1, vcc
	v_lshrrev_b32_e32 v2, 8, v7
	v_bfe_u32 v6, v7, 20, 11
	v_and_or_b32 v1, v2, s7, v1
	v_sub_u32_e32 v8, 0x3f1, v6
	v_or_b32_e32 v2, 0x1000, v1
	v_med3_i32 v8, v8, 0, 13
	v_lshrrev_b32_e32 v9, v8, v2
	v_lshlrev_b32_e32 v8, v8, v9
	v_cmp_ne_u32_e32 vcc, v8, v2
	v_cndmask_b32_e64 v2, 0, 1, vcc
	v_add_u32_e32 v6, 0xfffffc10, v6
	v_or_b32_e32 v2, v9, v2
	v_lshl_or_b32 v8, v6, 12, v1
	v_cmp_gt_i32_e32 vcc, 1, v6
	v_cndmask_b32_e32 v2, v8, v2, vcc
	v_and_b32_e32 v8, 7, v2
	v_cmp_lt_i32_e32 vcc, 5, v8
	v_cmp_eq_u32_e64 s[0:1], 3, v8
	v_lshrrev_b32_e32 v2, 2, v2
	s_or_b64 vcc, s[0:1], vcc
	v_addc_co_u32_e32 v2, vcc, 0, v2, vcc
	v_cmp_gt_i32_e32 vcc, 31, v6
	v_cndmask_b32_e32 v2, v3, v2, vcc
	v_cmp_ne_u32_e32 vcc, 0, v1
	v_cndmask_b32_e64 v1, 0, 1, vcc
	v_lshl_or_b32 v1, v1, 9, v3
	v_cmp_eq_u32_e32 vcc, s10, v6
	v_cndmask_b32_e32 v1, v2, v1, vcc
	v_lshrrev_b32_e32 v2, 16, v7
	v_and_or_b32 v1, v2, s11, v1
	v_and_b32_e32 v0, 0xffff, v0
	v_lshl_or_b32 v2, v1, 16, v0
	v_mov_b32_e32 v1, s2
	v_add_co_u32_e32 v0, vcc, s3, v4
	v_addc_co_u32_e32 v1, vcc, v5, v1, vcc
	global_store_dword v[0:1], v2, off
.LBB0_10:
	s_endpgm
	.section	.rodata,"a",@progbits
	.p2align	6, 0x0
	.amdhsa_kernel bluestein_single_back_len2023_dim1_half_op_CI_CI
		.amdhsa_group_segment_fixed_size 8092
		.amdhsa_private_segment_fixed_size 0
		.amdhsa_kernarg_size 104
		.amdhsa_user_sgpr_count 6
		.amdhsa_user_sgpr_private_segment_buffer 1
		.amdhsa_user_sgpr_dispatch_ptr 0
		.amdhsa_user_sgpr_queue_ptr 0
		.amdhsa_user_sgpr_kernarg_segment_ptr 1
		.amdhsa_user_sgpr_dispatch_id 0
		.amdhsa_user_sgpr_flat_scratch_init 0
		.amdhsa_user_sgpr_private_segment_size 0
		.amdhsa_uses_dynamic_stack 0
		.amdhsa_system_sgpr_private_segment_wavefront_offset 0
		.amdhsa_system_sgpr_workgroup_id_x 1
		.amdhsa_system_sgpr_workgroup_id_y 0
		.amdhsa_system_sgpr_workgroup_id_z 0
		.amdhsa_system_sgpr_workgroup_info 0
		.amdhsa_system_vgpr_workitem_id 0
		.amdhsa_next_free_vgpr 140
		.amdhsa_next_free_sgpr 30
		.amdhsa_reserve_vcc 1
		.amdhsa_reserve_flat_scratch 0
		.amdhsa_float_round_mode_32 0
		.amdhsa_float_round_mode_16_64 0
		.amdhsa_float_denorm_mode_32 3
		.amdhsa_float_denorm_mode_16_64 3
		.amdhsa_dx10_clamp 1
		.amdhsa_ieee_mode 1
		.amdhsa_fp16_overflow 0
		.amdhsa_exception_fp_ieee_invalid_op 0
		.amdhsa_exception_fp_denorm_src 0
		.amdhsa_exception_fp_ieee_div_zero 0
		.amdhsa_exception_fp_ieee_overflow 0
		.amdhsa_exception_fp_ieee_underflow 0
		.amdhsa_exception_fp_ieee_inexact 0
		.amdhsa_exception_int_div_zero 0
	.end_amdhsa_kernel
	.text
.Lfunc_end0:
	.size	bluestein_single_back_len2023_dim1_half_op_CI_CI, .Lfunc_end0-bluestein_single_back_len2023_dim1_half_op_CI_CI
                                        ; -- End function
	.section	.AMDGPU.csdata,"",@progbits
; Kernel info:
; codeLenInByte = 37296
; NumSgprs: 34
; NumVgprs: 140
; ScratchSize: 0
; MemoryBound: 0
; FloatMode: 240
; IeeeMode: 1
; LDSByteSize: 8092 bytes/workgroup (compile time only)
; SGPRBlocks: 4
; VGPRBlocks: 34
; NumSGPRsForWavesPerEU: 34
; NumVGPRsForWavesPerEU: 140
; Occupancy: 1
; WaveLimiterHint : 1
; COMPUTE_PGM_RSRC2:SCRATCH_EN: 0
; COMPUTE_PGM_RSRC2:USER_SGPR: 6
; COMPUTE_PGM_RSRC2:TRAP_HANDLER: 0
; COMPUTE_PGM_RSRC2:TGID_X_EN: 1
; COMPUTE_PGM_RSRC2:TGID_Y_EN: 0
; COMPUTE_PGM_RSRC2:TGID_Z_EN: 0
; COMPUTE_PGM_RSRC2:TIDIG_COMP_CNT: 0
	.type	__hip_cuid_2f7cee31b345a075,@object ; @__hip_cuid_2f7cee31b345a075
	.section	.bss,"aw",@nobits
	.globl	__hip_cuid_2f7cee31b345a075
__hip_cuid_2f7cee31b345a075:
	.byte	0                               ; 0x0
	.size	__hip_cuid_2f7cee31b345a075, 1

	.ident	"AMD clang version 19.0.0git (https://github.com/RadeonOpenCompute/llvm-project roc-6.4.0 25133 c7fe45cf4b819c5991fe208aaa96edf142730f1d)"
	.section	".note.GNU-stack","",@progbits
	.addrsig
	.addrsig_sym __hip_cuid_2f7cee31b345a075
	.amdgpu_metadata
---
amdhsa.kernels:
  - .args:
      - .actual_access:  read_only
        .address_space:  global
        .offset:         0
        .size:           8
        .value_kind:     global_buffer
      - .actual_access:  read_only
        .address_space:  global
        .offset:         8
        .size:           8
        .value_kind:     global_buffer
      - .actual_access:  read_only
        .address_space:  global
        .offset:         16
        .size:           8
        .value_kind:     global_buffer
      - .actual_access:  read_only
        .address_space:  global
        .offset:         24
        .size:           8
        .value_kind:     global_buffer
      - .actual_access:  read_only
        .address_space:  global
        .offset:         32
        .size:           8
        .value_kind:     global_buffer
      - .offset:         40
        .size:           8
        .value_kind:     by_value
      - .address_space:  global
        .offset:         48
        .size:           8
        .value_kind:     global_buffer
      - .address_space:  global
        .offset:         56
        .size:           8
        .value_kind:     global_buffer
      - .address_space:  global
        .offset:         64
        .size:           8
        .value_kind:     global_buffer
      - .address_space:  global
        .offset:         72
        .size:           8
        .value_kind:     global_buffer
      - .offset:         80
        .size:           4
        .value_kind:     by_value
      - .address_space:  global
        .offset:         88
        .size:           8
        .value_kind:     global_buffer
      - .address_space:  global
        .offset:         96
        .size:           8
        .value_kind:     global_buffer
    .group_segment_fixed_size: 8092
    .kernarg_segment_align: 8
    .kernarg_segment_size: 104
    .language:       OpenCL C
    .language_version:
      - 2
      - 0
    .max_flat_workgroup_size: 119
    .name:           bluestein_single_back_len2023_dim1_half_op_CI_CI
    .private_segment_fixed_size: 0
    .sgpr_count:     34
    .sgpr_spill_count: 0
    .symbol:         bluestein_single_back_len2023_dim1_half_op_CI_CI.kd
    .uniform_work_group_size: 1
    .uses_dynamic_stack: false
    .vgpr_count:     140
    .vgpr_spill_count: 0
    .wavefront_size: 64
amdhsa.target:   amdgcn-amd-amdhsa--gfx906
amdhsa.version:
  - 1
  - 2
...

	.end_amdgpu_metadata
